;; amdgpu-corpus repo=ROCm/rocFFT kind=compiled arch=gfx1030 opt=O3
	.text
	.amdgcn_target "amdgcn-amd-amdhsa--gfx1030"
	.amdhsa_code_object_version 6
	.protected	fft_rtc_fwd_len2025_factors_3_3_5_5_3_3_wgs_135_tpt_135_halfLds_dp_ip_CI_unitstride_sbrr_dirReg ; -- Begin function fft_rtc_fwd_len2025_factors_3_3_5_5_3_3_wgs_135_tpt_135_halfLds_dp_ip_CI_unitstride_sbrr_dirReg
	.globl	fft_rtc_fwd_len2025_factors_3_3_5_5_3_3_wgs_135_tpt_135_halfLds_dp_ip_CI_unitstride_sbrr_dirReg
	.p2align	8
	.type	fft_rtc_fwd_len2025_factors_3_3_5_5_3_3_wgs_135_tpt_135_halfLds_dp_ip_CI_unitstride_sbrr_dirReg,@function
fft_rtc_fwd_len2025_factors_3_3_5_5_3_3_wgs_135_tpt_135_halfLds_dp_ip_CI_unitstride_sbrr_dirReg: ; @fft_rtc_fwd_len2025_factors_3_3_5_5_3_3_wgs_135_tpt_135_halfLds_dp_ip_CI_unitstride_sbrr_dirReg
; %bb.0:
	s_clause 0x2
	s_load_dwordx4 s[8:11], s[4:5], 0x0
	s_load_dwordx2 s[2:3], s[4:5], 0x50
	s_load_dwordx2 s[12:13], s[4:5], 0x18
	v_mul_u32_u24_e32 v1, 0x1e6, v0
	v_mov_b32_e32 v3, 0
	v_add_nc_u32_sdwa v5, s6, v1 dst_sel:DWORD dst_unused:UNUSED_PAD src0_sel:DWORD src1_sel:WORD_1
	v_mov_b32_e32 v1, 0
	v_mov_b32_e32 v6, v3
	v_mov_b32_e32 v2, 0
	s_waitcnt lgkmcnt(0)
	v_cmp_lt_u64_e64 s0, s[10:11], 2
	s_and_b32 vcc_lo, exec_lo, s0
	s_cbranch_vccnz .LBB0_8
; %bb.1:
	s_load_dwordx2 s[0:1], s[4:5], 0x10
	v_mov_b32_e32 v1, 0
	s_add_u32 s6, s12, 8
	v_mov_b32_e32 v2, 0
	s_addc_u32 s7, s13, 0
	s_mov_b64 s[16:17], 1
	s_waitcnt lgkmcnt(0)
	s_add_u32 s14, s0, 8
	s_addc_u32 s15, s1, 0
.LBB0_2:                                ; =>This Inner Loop Header: Depth=1
	s_load_dwordx2 s[18:19], s[14:15], 0x0
                                        ; implicit-def: $vgpr7_vgpr8
	s_mov_b32 s0, exec_lo
	s_waitcnt lgkmcnt(0)
	v_or_b32_e32 v4, s19, v6
	v_cmpx_ne_u64_e32 0, v[3:4]
	s_xor_b32 s1, exec_lo, s0
	s_cbranch_execz .LBB0_4
; %bb.3:                                ;   in Loop: Header=BB0_2 Depth=1
	v_cvt_f32_u32_e32 v4, s18
	v_cvt_f32_u32_e32 v7, s19
	s_sub_u32 s0, 0, s18
	s_subb_u32 s20, 0, s19
	v_fmac_f32_e32 v4, 0x4f800000, v7
	v_rcp_f32_e32 v4, v4
	v_mul_f32_e32 v4, 0x5f7ffffc, v4
	v_mul_f32_e32 v7, 0x2f800000, v4
	v_trunc_f32_e32 v7, v7
	v_fmac_f32_e32 v4, 0xcf800000, v7
	v_cvt_u32_f32_e32 v7, v7
	v_cvt_u32_f32_e32 v4, v4
	v_mul_lo_u32 v8, s0, v7
	v_mul_hi_u32 v9, s0, v4
	v_mul_lo_u32 v10, s20, v4
	v_add_nc_u32_e32 v8, v9, v8
	v_mul_lo_u32 v9, s0, v4
	v_add_nc_u32_e32 v8, v8, v10
	v_mul_hi_u32 v10, v4, v9
	v_mul_lo_u32 v11, v4, v8
	v_mul_hi_u32 v12, v4, v8
	v_mul_hi_u32 v13, v7, v9
	v_mul_lo_u32 v9, v7, v9
	v_mul_hi_u32 v14, v7, v8
	v_mul_lo_u32 v8, v7, v8
	v_add_co_u32 v10, vcc_lo, v10, v11
	v_add_co_ci_u32_e32 v11, vcc_lo, 0, v12, vcc_lo
	v_add_co_u32 v9, vcc_lo, v10, v9
	v_add_co_ci_u32_e32 v9, vcc_lo, v11, v13, vcc_lo
	v_add_co_ci_u32_e32 v10, vcc_lo, 0, v14, vcc_lo
	v_add_co_u32 v8, vcc_lo, v9, v8
	v_add_co_ci_u32_e32 v9, vcc_lo, 0, v10, vcc_lo
	v_add_co_u32 v4, vcc_lo, v4, v8
	v_add_co_ci_u32_e32 v7, vcc_lo, v7, v9, vcc_lo
	v_mul_hi_u32 v8, s0, v4
	v_mul_lo_u32 v10, s20, v4
	v_mul_lo_u32 v9, s0, v7
	v_add_nc_u32_e32 v8, v8, v9
	v_mul_lo_u32 v9, s0, v4
	v_add_nc_u32_e32 v8, v8, v10
	v_mul_hi_u32 v10, v4, v9
	v_mul_lo_u32 v11, v4, v8
	v_mul_hi_u32 v12, v4, v8
	v_mul_hi_u32 v13, v7, v9
	v_mul_lo_u32 v9, v7, v9
	v_mul_hi_u32 v14, v7, v8
	v_mul_lo_u32 v8, v7, v8
	v_add_co_u32 v10, vcc_lo, v10, v11
	v_add_co_ci_u32_e32 v11, vcc_lo, 0, v12, vcc_lo
	v_add_co_u32 v9, vcc_lo, v10, v9
	v_add_co_ci_u32_e32 v9, vcc_lo, v11, v13, vcc_lo
	v_add_co_ci_u32_e32 v10, vcc_lo, 0, v14, vcc_lo
	v_add_co_u32 v8, vcc_lo, v9, v8
	v_add_co_ci_u32_e32 v9, vcc_lo, 0, v10, vcc_lo
	v_add_co_u32 v4, vcc_lo, v4, v8
	v_add_co_ci_u32_e32 v11, vcc_lo, v7, v9, vcc_lo
	v_mul_hi_u32 v13, v5, v4
	v_mad_u64_u32 v[9:10], null, v6, v4, 0
	v_mad_u64_u32 v[7:8], null, v5, v11, 0
	;; [unrolled: 1-line block ×3, first 2 shown]
	v_add_co_u32 v4, vcc_lo, v13, v7
	v_add_co_ci_u32_e32 v7, vcc_lo, 0, v8, vcc_lo
	v_add_co_u32 v4, vcc_lo, v4, v9
	v_add_co_ci_u32_e32 v4, vcc_lo, v7, v10, vcc_lo
	v_add_co_ci_u32_e32 v7, vcc_lo, 0, v12, vcc_lo
	v_add_co_u32 v4, vcc_lo, v4, v11
	v_add_co_ci_u32_e32 v9, vcc_lo, 0, v7, vcc_lo
	v_mul_lo_u32 v10, s19, v4
	v_mad_u64_u32 v[7:8], null, s18, v4, 0
	v_mul_lo_u32 v11, s18, v9
	v_sub_co_u32 v7, vcc_lo, v5, v7
	v_add3_u32 v8, v8, v11, v10
	v_sub_nc_u32_e32 v10, v6, v8
	v_subrev_co_ci_u32_e64 v10, s0, s19, v10, vcc_lo
	v_add_co_u32 v11, s0, v4, 2
	v_add_co_ci_u32_e64 v12, s0, 0, v9, s0
	v_sub_co_u32 v13, s0, v7, s18
	v_sub_co_ci_u32_e32 v8, vcc_lo, v6, v8, vcc_lo
	v_subrev_co_ci_u32_e64 v10, s0, 0, v10, s0
	v_cmp_le_u32_e32 vcc_lo, s18, v13
	v_cmp_eq_u32_e64 s0, s19, v8
	v_cndmask_b32_e64 v13, 0, -1, vcc_lo
	v_cmp_le_u32_e32 vcc_lo, s19, v10
	v_cndmask_b32_e64 v14, 0, -1, vcc_lo
	v_cmp_le_u32_e32 vcc_lo, s18, v7
	;; [unrolled: 2-line block ×3, first 2 shown]
	v_cndmask_b32_e64 v15, 0, -1, vcc_lo
	v_cmp_eq_u32_e32 vcc_lo, s19, v10
	v_cndmask_b32_e64 v7, v15, v7, s0
	v_cndmask_b32_e32 v10, v14, v13, vcc_lo
	v_add_co_u32 v13, vcc_lo, v4, 1
	v_add_co_ci_u32_e32 v14, vcc_lo, 0, v9, vcc_lo
	v_cmp_ne_u32_e32 vcc_lo, 0, v10
	v_cndmask_b32_e32 v8, v14, v12, vcc_lo
	v_cndmask_b32_e32 v10, v13, v11, vcc_lo
	v_cmp_ne_u32_e32 vcc_lo, 0, v7
	v_cndmask_b32_e32 v8, v9, v8, vcc_lo
	v_cndmask_b32_e32 v7, v4, v10, vcc_lo
.LBB0_4:                                ;   in Loop: Header=BB0_2 Depth=1
	s_andn2_saveexec_b32 s0, s1
	s_cbranch_execz .LBB0_6
; %bb.5:                                ;   in Loop: Header=BB0_2 Depth=1
	v_cvt_f32_u32_e32 v4, s18
	s_sub_i32 s1, 0, s18
	v_rcp_iflag_f32_e32 v4, v4
	v_mul_f32_e32 v4, 0x4f7ffffe, v4
	v_cvt_u32_f32_e32 v4, v4
	v_mul_lo_u32 v7, s1, v4
	v_mul_hi_u32 v7, v4, v7
	v_add_nc_u32_e32 v4, v4, v7
	v_mul_hi_u32 v4, v5, v4
	v_mul_lo_u32 v7, v4, s18
	v_add_nc_u32_e32 v8, 1, v4
	v_sub_nc_u32_e32 v7, v5, v7
	v_subrev_nc_u32_e32 v9, s18, v7
	v_cmp_le_u32_e32 vcc_lo, s18, v7
	v_cndmask_b32_e32 v7, v7, v9, vcc_lo
	v_cndmask_b32_e32 v4, v4, v8, vcc_lo
	v_cmp_le_u32_e32 vcc_lo, s18, v7
	v_add_nc_u32_e32 v8, 1, v4
	v_cndmask_b32_e32 v7, v4, v8, vcc_lo
	v_mov_b32_e32 v8, v3
.LBB0_6:                                ;   in Loop: Header=BB0_2 Depth=1
	s_or_b32 exec_lo, exec_lo, s0
	s_load_dwordx2 s[0:1], s[6:7], 0x0
	v_mul_lo_u32 v4, v8, s18
	v_mul_lo_u32 v11, v7, s19
	v_mad_u64_u32 v[9:10], null, v7, s18, 0
	s_add_u32 s16, s16, 1
	s_addc_u32 s17, s17, 0
	s_add_u32 s6, s6, 8
	s_addc_u32 s7, s7, 0
	;; [unrolled: 2-line block ×3, first 2 shown]
	v_add3_u32 v4, v10, v11, v4
	v_sub_co_u32 v5, vcc_lo, v5, v9
	v_sub_co_ci_u32_e32 v4, vcc_lo, v6, v4, vcc_lo
	s_waitcnt lgkmcnt(0)
	v_mul_lo_u32 v6, s1, v5
	v_mul_lo_u32 v4, s0, v4
	v_mad_u64_u32 v[1:2], null, s0, v5, v[1:2]
	v_cmp_ge_u64_e64 s0, s[16:17], s[10:11]
	s_and_b32 vcc_lo, exec_lo, s0
	v_add3_u32 v2, v6, v2, v4
	s_cbranch_vccnz .LBB0_9
; %bb.7:                                ;   in Loop: Header=BB0_2 Depth=1
	v_mov_b32_e32 v5, v7
	v_mov_b32_e32 v6, v8
	s_branch .LBB0_2
.LBB0_8:
	v_mov_b32_e32 v8, v6
	v_mov_b32_e32 v7, v5
.LBB0_9:
	s_lshl_b64 s[0:1], s[10:11], 3
	v_mul_hi_u32 v5, 0x1e573ad, v0
	s_add_u32 s0, s12, s0
	s_addc_u32 s1, s13, s1
                                        ; implicit-def: $vgpr30_vgpr31
                                        ; implicit-def: $vgpr42_vgpr43
                                        ; implicit-def: $vgpr46_vgpr47
                                        ; implicit-def: $vgpr34_vgpr35
                                        ; implicit-def: $vgpr50_vgpr51
                                        ; implicit-def: $vgpr18_vgpr19
                                        ; implicit-def: $vgpr14_vgpr15
                                        ; implicit-def: $vgpr38_vgpr39
                                        ; implicit-def: $vgpr26_vgpr27
                                        ; implicit-def: $vgpr22_vgpr23
                                        ; implicit-def: $vgpr58_vgpr59
                                        ; implicit-def: $vgpr54_vgpr55
                                        ; implicit-def: $vgpr10_vgpr11
	s_load_dwordx2 s[0:1], s[0:1], 0x0
	s_load_dwordx2 s[4:5], s[4:5], 0x20
	s_waitcnt lgkmcnt(0)
	v_mul_lo_u32 v3, s0, v8
	v_mul_lo_u32 v4, s1, v7
	v_mad_u64_u32 v[1:2], null, s0, v7, v[1:2]
	v_cmp_gt_u64_e32 vcc_lo, s[4:5], v[7:8]
                                        ; implicit-def: $vgpr6_vgpr7
	v_add3_u32 v2, v4, v2, v3
	v_mul_u32_u24_e32 v3, 0x87, v5
	v_lshlrev_b64 v[90:91], 4, v[1:2]
	v_sub_nc_u32_e32 v88, v0, v3
                                        ; implicit-def: $vgpr2_vgpr3
	s_and_saveexec_b32 s1, vcc_lo
	s_cbranch_execz .LBB0_11
; %bb.10:
	v_mov_b32_e32 v89, 0
	v_add_co_u32 v2, s0, s2, v90
	v_add_co_ci_u32_e64 v3, s0, s3, v91, s0
	v_lshlrev_b64 v[0:1], 4, v[88:89]
	v_add_co_u32 v28, s0, v2, v0
	v_add_co_ci_u32_e64 v29, s0, v3, v1, s0
	v_add_co_u32 v0, s0, 0x2800, v28
	v_add_co_ci_u32_e64 v1, s0, 0, v29, s0
	v_add_co_u32 v2, s0, 0x5000, v28
	v_add_co_ci_u32_e64 v3, s0, 0, v29, s0
	v_add_co_u32 v4, s0, 0x800, v28
	v_add_co_ci_u32_e64 v5, s0, 0, v29, s0
	v_add_co_u32 v12, s0, 0x3000, v28
	v_add_co_ci_u32_e64 v13, s0, 0, v29, s0
	v_add_co_u32 v14, s0, 0x5800, v28
	v_add_co_ci_u32_e64 v15, s0, 0, v29, s0
	v_add_co_u32 v16, s0, 0x1000, v28
	v_add_co_ci_u32_e64 v17, s0, 0, v29, s0
	v_add_co_u32 v18, s0, 0x3800, v28
	v_add_co_ci_u32_e64 v19, s0, 0, v29, s0
	v_add_co_u32 v30, s0, 0x6000, v28
	v_add_co_ci_u32_e64 v31, s0, 0, v29, s0
	v_add_co_u32 v32, s0, 0x1800, v28
	v_add_co_ci_u32_e64 v33, s0, 0, v29, s0
	s_clause 0x9
	global_load_dwordx4 v[8:11], v[28:29], off
	global_load_dwordx4 v[52:55], v[0:1], off offset:560
	global_load_dwordx4 v[0:3], v[2:3], off offset:1120
	;; [unrolled: 1-line block ×9, first 2 shown]
	v_add_co_u32 v30, s0, 0x4000, v28
	v_add_co_ci_u32_e64 v31, s0, 0, v29, s0
	v_add_co_u32 v32, s0, 0x6800, v28
	v_add_co_ci_u32_e64 v33, s0, 0, v29, s0
	;; [unrolled: 2-line block ×5, first 2 shown]
	s_clause 0x4
	global_load_dwordx4 v[48:51], v[30:31], off offset:896
	global_load_dwordx4 v[32:35], v[32:33], off offset:1456
	;; [unrolled: 1-line block ×5, first 2 shown]
.LBB0_11:
	s_or_b32 exec_lo, exec_lo, s1
	s_waitcnt vmcnt(12)
	v_add_f64 v[60:61], v[0:1], v[52:53]
	v_add_f64 v[64:65], v[2:3], v[54:55]
	s_waitcnt vmcnt(9)
	v_add_f64 v[72:73], v[20:21], v[56:57]
	v_add_f64 v[62:63], v[52:53], v[8:9]
	;; [unrolled: 1-line block ×5, first 2 shown]
	s_waitcnt vmcnt(6)
	v_add_f64 v[76:77], v[12:13], v[36:37]
	v_add_f64 v[78:79], v[14:15], v[38:39]
	s_waitcnt vmcnt(3)
	v_add_f64 v[80:81], v[32:33], v[48:49]
	v_add_f64 v[70:71], v[58:59], v[6:7]
	s_waitcnt vmcnt(0)
	v_add_f64 v[84:85], v[28:29], v[40:41]
	v_add_f64 v[54:55], v[54:55], -v[2:3]
	v_add_f64 v[52:53], v[52:53], -v[0:1]
	;; [unrolled: 1-line block ×3, first 2 shown]
	v_add_f64 v[86:87], v[30:31], v[42:43]
	v_add_f64 v[56:57], v[56:57], -v[20:21]
	v_add_f64 v[82:83], v[34:35], v[50:51]
	v_add_f64 v[92:93], v[38:39], v[26:27]
	v_add_f64 v[38:39], v[38:39], -v[14:15]
	v_add_f64 v[94:95], v[50:51], v[18:19]
	v_add_f64 v[50:51], v[50:51], -v[34:35]
	v_fma_f64 v[8:9], v[60:61], -0.5, v[8:9]
	v_fma_f64 v[10:11], v[64:65], -0.5, v[10:11]
	;; [unrolled: 1-line block ×3, first 2 shown]
	v_add_f64 v[60:61], v[36:37], v[24:25]
	v_add_f64 v[36:37], v[36:37], -v[12:13]
	v_add_f64 v[64:65], v[48:49], v[16:17]
	v_fma_f64 v[6:7], v[74:75], -0.5, v[6:7]
	v_add_f64 v[0:1], v[0:1], v[62:63]
	v_fma_f64 v[24:25], v[76:77], -0.5, v[24:25]
	v_add_f64 v[62:63], v[2:3], v[66:67]
	v_add_f64 v[2:3], v[20:21], v[68:69]
	v_fma_f64 v[20:21], v[78:79], -0.5, v[26:27]
	v_fma_f64 v[16:17], v[80:81], -0.5, v[16:17]
	v_add_f64 v[72:73], v[40:41], v[44:45]
	v_add_f64 v[66:67], v[22:23], v[70:71]
	v_fma_f64 v[22:23], v[84:85], -0.5, v[44:45]
	v_add_f64 v[44:45], v[42:43], -v[30:31]
	s_mov_b32 s4, 0xe8584caa
	s_mov_b32 s5, 0x3febb67a
	;; [unrolled: 1-line block ×4, first 2 shown]
	v_add_f64 v[42:43], v[42:43], v[46:47]
	v_fma_f64 v[26:27], v[54:55], s[4:5], v[8:9]
	v_fma_f64 v[8:9], v[54:55], s[6:7], v[8:9]
	;; [unrolled: 1-line block ×4, first 2 shown]
	v_add_f64 v[10:11], v[48:49], -v[32:33]
	v_fma_f64 v[48:49], v[86:87], -0.5, v[46:47]
	v_add_f64 v[40:41], v[40:41], -v[28:29]
	v_fma_f64 v[46:47], v[58:59], s[4:5], v[4:5]
	v_fma_f64 v[4:5], v[58:59], s[6:7], v[4:5]
	;; [unrolled: 1-line block ×4, first 2 shown]
	v_add_f64 v[6:7], v[12:13], v[60:61]
	v_fma_f64 v[12:13], v[38:39], s[4:5], v[24:25]
	v_fma_f64 v[24:25], v[38:39], s[6:7], v[24:25]
	v_add_f64 v[38:39], v[14:15], v[92:93]
	v_fma_f64 v[60:61], v[36:37], s[6:7], v[20:21]
	v_fma_f64 v[36:37], v[36:37], s[4:5], v[20:21]
	;; [unrolled: 3-line block ×3, first 2 shown]
	v_fma_f64 v[18:19], v[82:83], -0.5, v[18:19]
	v_add_f64 v[32:33], v[34:35], v[94:95]
	v_add_f64 v[28:29], v[28:29], v[72:73]
	v_fma_f64 v[34:35], v[44:45], s[4:5], v[22:23]
	v_fma_f64 v[22:23], v[44:45], s[6:7], v[22:23]
	v_mad_u32_u24 v64, v88, 24, 0
	v_add_f64 v[30:31], v[30:31], v[42:43]
	ds_write2_b64 v64, v[0:1], v[26:27] offset1:1
	ds_write_b64 v64, v[8:9] offset:16
	v_add_nc_u32_e32 v65, 0xca8, v64
	v_fma_f64 v[42:43], v[40:41], s[6:7], v[48:49]
	v_fma_f64 v[40:41], v[40:41], s[4:5], v[48:49]
	v_add_nc_u32_e32 v48, 0x1950, v64
	ds_write2_b64 v65, v[2:3], v[46:47] offset1:1
	ds_write_b64 v64, v[4:5] offset:3256
	v_add_nc_u32_e32 v46, 0x25f8, v64
	v_and_b32_e32 v98, 0xff, v88
	v_add_nc_u32_e32 v47, 0x32a0, v64
	ds_write2_b64 v48, v[6:7], v[12:13] offset1:1
	ds_write_b64 v64, v[24:25] offset:6496
	ds_write2_b64 v46, v[14:15], v[20:21] offset1:1
	ds_write_b64 v64, v[16:17] offset:9736
	;; [unrolled: 2-line block ×3, first 2 shown]
	v_mul_lo_u16 v28, 0xab, v98
	v_add_nc_u32_e32 v111, 0x87, v88
	v_mov_b32_e32 v34, 0xaaab
	v_fma_f64 v[44:45], v[10:11], s[6:7], v[18:19]
	v_fma_f64 v[50:51], v[10:11], s[4:5], v[18:19]
	v_lshrrev_b16 v70, 9, v28
	v_lshlrev_b32_e32 v0, 4, v88
	v_mul_u32_u24_sdwa v28, v111, v34 dst_sel:DWORD dst_unused:UNUSED_PAD src0_sel:WORD_0 src1_sel:DWORD
	v_mov_b32_e32 v112, 5
	v_add_nc_u32_e32 v103, 0x10e, v88
	v_mul_lo_u16 v29, v70, 3
	v_sub_nc_u32_e32 v102, v64, v0
	v_lshrrev_b32_e32 v72, 17, v28
	s_waitcnt lgkmcnt(0)
	s_barrier
	v_sub_nc_u16 v71, v88, v29
	v_add_nc_u32_e32 v107, 0x2800, v102
	v_mul_lo_u16 v28, v72, 3
	v_add_nc_u32_e32 v108, 0x2000, v102
	v_add_nc_u32_e32 v89, 0x1000, v102
	;; [unrolled: 1-line block ×4, first 2 shown]
	v_sub_nc_u16 v73, v111, v28
	v_add_nc_u32_e32 v106, 0x3000, v102
	buffer_gl0_inv
	ds_read2_b64 v[4:7], v102 offset1:135
	ds_read2_b64 v[0:3], v89 offset0:28 offset1:163
	ds_read2_b64 v[20:23], v107 offset0:70 offset1:205
	;; [unrolled: 1-line block ×6, first 2 shown]
	ds_read_b64 v[68:69], v102 offset:15120
	s_waitcnt lgkmcnt(0)
	s_barrier
	buffer_gl0_inv
	ds_write2_b64 v64, v[62:63], v[54:55] offset1:1
	ds_write_b64 v64, v[52:53] offset:16
	ds_write2_b64 v65, v[66:67], v[58:59] offset1:1
	ds_write_b64 v64, v[56:57] offset:3256
	;; [unrolled: 2-line block ×3, first 2 shown]
	ds_write2_b64 v46, v[32:33], v[44:45] offset1:1
	v_lshlrev_b32_sdwa v32, v112, v71 dst_sel:DWORD dst_unused:UNUSED_PAD src0_sel:DWORD src1_sel:BYTE_0
	v_mul_u32_u24_sdwa v33, v103, v34 dst_sel:DWORD dst_unused:UNUSED_PAD src0_sel:WORD_0 src1_sel:DWORD
	v_add_nc_u32_e32 v109, 0x195, v88
	v_lshlrev_b32_sdwa v35, v112, v73 dst_sel:DWORD dst_unused:UNUSED_PAD src0_sel:DWORD src1_sel:WORD_0
	v_add_nc_u32_e32 v110, 0x21c, v88
	ds_write_b64 v64, v[50:51] offset:9736
	ds_write2_b64 v47, v[30:31], v[42:43] offset1:1
	ds_write_b64 v64, v[40:41] offset:12976
	s_waitcnt lgkmcnt(0)
	s_barrier
	buffer_gl0_inv
	s_clause 0x1
	global_load_dwordx4 v[28:31], v32, s[8:9] offset:16
	global_load_dwordx4 v[52:55], v32, s[8:9]
	v_lshrrev_b32_e32 v77, 17, v33
	v_mul_u32_u24_sdwa v33, v109, v34 dst_sel:DWORD dst_unused:UNUSED_PAD src0_sel:WORD_0 src1_sel:DWORD
	global_load_dwordx4 v[56:59], v35, s[8:9] offset:16
	v_mul_u32_u24_sdwa v34, v110, v34 dst_sel:DWORD dst_unused:UNUSED_PAD src0_sel:WORD_0 src1_sel:DWORD
	global_load_dwordx4 v[60:63], v35, s[8:9]
	v_mov_b32_e32 v126, 0xe38f
	v_lshrrev_b32_e32 v78, 17, v33
	v_mul_lo_u16 v33, v77, 3
	v_lshrrev_b32_e32 v79, 17, v34
	v_mov_b32_e32 v92, 0x48
	v_mul_u32_u24_sdwa v93, v111, v126 dst_sel:DWORD dst_unused:UNUSED_PAD src0_sel:WORD_0 src1_sel:DWORD
	v_mul_lo_u16 v34, v78, 3
	v_sub_nc_u16 v74, v103, v33
	v_mul_lo_u16 v32, v79, 3
	v_mul_u32_u24_sdwa v127, v70, v92 dst_sel:DWORD dst_unused:UNUSED_PAD src0_sel:WORD_0 src1_sel:DWORD
	v_lshrrev_b32_e32 v115, 19, v93
	v_sub_nc_u16 v75, v109, v34
	v_lshlrev_b32_sdwa v33, v112, v74 dst_sel:DWORD dst_unused:UNUSED_PAD src0_sel:DWORD src1_sel:WORD_0
	v_sub_nc_u16 v76, v110, v32
	v_mul_lo_u16 v84, v98, 57
	v_mov_b32_e32 v113, 3
	v_lshlrev_b32_sdwa v36, v112, v75 dst_sel:DWORD dst_unused:UNUSED_PAD src0_sel:DWORD src1_sel:WORD_0
	global_load_dwordx4 v[40:43], v33, s[8:9]
	v_lshlrev_b32_sdwa v64, v112, v76 dst_sel:DWORD dst_unused:UNUSED_PAD src0_sel:DWORD src1_sel:WORD_0
	s_clause 0x4
	global_load_dwordx4 v[44:47], v33, s[8:9] offset:16
	global_load_dwordx4 v[32:35], v36, s[8:9] offset:16
	global_load_dwordx4 v[36:39], v36, s[8:9]
	global_load_dwordx4 v[48:51], v64, s[8:9]
	global_load_dwordx4 v[64:67], v64, s[8:9] offset:16
	ds_read2_b64 v[80:83], v107 offset0:70 offset1:205
	ds_read2_b64 v[92:95], v89 offset0:28 offset1:163
	v_lshrrev_b16 v101, 9, v84
	v_mul_u32_u24_e32 v128, 0x48, v72
	v_mul_lo_u16 v72, v115, 9
	ds_read2_b64 v[84:87], v104 offset0:42 offset1:177
	v_mul_u32_u24_e32 v129, 0x48, v77
	v_mul_u32_u24_e32 v130, 0x48, v78
	v_mul_lo_u16 v70, v101, 9
	ds_read2_b64 v[116:119], v106 offset0:84 offset1:219
	v_sub_nc_u16 v100, v111, v72
	v_lshlrev_b32_sdwa v132, v113, v73 dst_sel:DWORD dst_unused:UNUSED_PAD src0_sel:DWORD src1_sel:WORD_0
	v_mul_u32_u24_e32 v131, 0x48, v79
	v_sub_nc_u16 v114, v88, v70
	v_lshlrev_b32_sdwa v79, v113, v71 dst_sel:DWORD dst_unused:UNUSED_PAD src0_sel:DWORD src1_sel:BYTE_0
	ds_read2_b64 v[120:123], v108 offset0:56 offset1:191
	ds_read_b64 v[70:71], v102 offset:15120
	v_lshlrev_b32_sdwa v133, v113, v74 dst_sel:DWORD dst_unused:UNUSED_PAD src0_sel:DWORD src1_sel:WORD_0
	v_lshlrev_b32_sdwa v134, v113, v75 dst_sel:DWORD dst_unused:UNUSED_PAD src0_sel:DWORD src1_sel:WORD_0
	;; [unrolled: 1-line block ×3, first 2 shown]
	v_add3_u32 v127, 0, v127, v79
	v_mov_b32_e32 v99, 6
	v_mul_lo_u16 v98, 0x6d, v98
	v_mov_b32_e32 v139, 0x2d83
	v_mov_b32_e32 v137, 0x168
	s_mov_b32 s12, 0x134454ff
	v_lshlrev_b32_sdwa v136, v99, v114 dst_sel:DWORD dst_unused:UNUSED_PAD src0_sel:DWORD src1_sel:BYTE_0
	v_lshrrev_b16 v98, 8, v98
	s_mov_b32 s13, 0x3fee6f0e
	s_mov_b32 s19, 0xbfee6f0e
	s_mov_b32 s18, s12
	s_mov_b32 s10, 0x4755a5e
	s_mov_b32 s11, 0x3fe2cf23
	s_mov_b32 s17, 0xbfe2cf23
	s_mov_b32 s16, s10
	s_mov_b32 s14, 0x372fe950
	s_mov_b32 s15, 0x3fd3c6ef
	v_cmp_gt_u32_e64 s0, 0x5a, v88
	s_waitcnt vmcnt(9) lgkmcnt(5)
	v_mul_f64 v[77:78], v[80:81], v[30:31]
	v_mul_f64 v[30:31], v[20:21], v[30:31]
	s_waitcnt vmcnt(8) lgkmcnt(4)
	v_mul_f64 v[72:73], v[94:95], v[54:55]
	v_mul_f64 v[54:55], v[2:3], v[54:55]
	s_waitcnt vmcnt(7)
	v_mul_f64 v[96:97], v[82:83], v[58:59]
	v_mul_f64 v[58:59], v[22:23], v[58:59]
	s_waitcnt vmcnt(6) lgkmcnt(3)
	v_mul_f64 v[124:125], v[84:85], v[62:63]
	v_mul_f64 v[62:63], v[16:17], v[62:63]
	v_fma_f64 v[20:21], v[20:21], v[28:29], -v[77:78]
	v_fma_f64 v[28:29], v[80:81], v[28:29], v[30:31]
	s_waitcnt vmcnt(5)
	v_mul_f64 v[30:31], v[86:87], v[42:43]
	v_mul_f64 v[42:43], v[18:19], v[42:43]
	s_waitcnt vmcnt(4) lgkmcnt(2)
	v_mul_f64 v[74:75], v[116:117], v[46:47]
	v_mul_f64 v[46:47], v[12:13], v[46:47]
	v_fma_f64 v[22:23], v[22:23], v[56:57], -v[96:97]
	s_waitcnt vmcnt(3)
	v_mul_f64 v[76:77], v[118:119], v[34:35]
	v_fma_f64 v[56:57], v[82:83], v[56:57], v[58:59]
	s_waitcnt vmcnt(2) lgkmcnt(1)
	v_mul_f64 v[58:59], v[120:121], v[38:39]
	v_mul_f64 v[34:35], v[14:15], v[34:35]
	;; [unrolled: 1-line block ×3, first 2 shown]
	s_waitcnt vmcnt(1)
	v_mul_f64 v[78:79], v[122:123], v[50:51]
	s_waitcnt vmcnt(0) lgkmcnt(0)
	v_mul_f64 v[80:81], v[70:71], v[66:67]
	v_fma_f64 v[2:3], v[2:3], v[52:53], -v[72:73]
	v_fma_f64 v[52:53], v[94:95], v[52:53], v[54:55]
	v_mul_f64 v[50:51], v[26:27], v[50:51]
	v_mul_f64 v[54:55], v[68:69], v[66:67]
	v_fma_f64 v[82:83], v[16:17], v[60:61], -v[124:125]
	v_fma_f64 v[60:61], v[84:85], v[60:61], v[62:63]
	v_lshlrev_b32_sdwa v125, v99, v100 dst_sel:DWORD dst_unused:UNUSED_PAD src0_sel:DWORD src1_sel:WORD_0
	v_add3_u32 v124, 0, v128, v132
	v_add3_u32 v128, 0, v129, v133
	;; [unrolled: 1-line block ×3, first 2 shown]
	v_fma_f64 v[30:31], v[18:19], v[40:41], -v[30:31]
	v_fma_f64 v[40:41], v[86:87], v[40:41], v[42:43]
	v_fma_f64 v[62:63], v[12:13], v[44:45], -v[74:75]
	v_fma_f64 v[42:43], v[116:117], v[44:45], v[46:47]
	ds_read2_b64 v[16:19], v102 offset1:135
	v_fma_f64 v[66:67], v[14:15], v[32:33], -v[76:77]
	ds_read2_b64 v[12:15], v105 offset0:14 offset1:149
	v_fma_f64 v[24:25], v[24:25], v[36:37], -v[58:59]
	v_fma_f64 v[32:33], v[118:119], v[32:33], v[34:35]
	v_fma_f64 v[34:35], v[120:121], v[36:37], v[38:39]
	v_fma_f64 v[26:27], v[26:27], v[48:49], -v[78:79]
	v_fma_f64 v[58:59], v[68:69], v[64:65], -v[80:81]
	v_add_f64 v[46:47], v[2:3], v[20:21]
	v_add_f64 v[44:45], v[4:5], v[2:3]
	v_fma_f64 v[36:37], v[122:123], v[48:49], v[50:51]
	v_fma_f64 v[38:39], v[70:71], v[64:65], v[54:55]
	v_add_f64 v[64:65], v[52:53], v[28:29]
	v_add_f64 v[50:51], v[82:83], v[22:23]
	v_add_f64 v[68:69], v[60:61], v[56:57]
	v_add_f64 v[54:55], v[6:7], v[82:83]
	v_add_f64 v[48:49], v[52:53], -v[28:29]
	v_add_f64 v[2:3], v[2:3], -v[20:21]
	v_add_f64 v[78:79], v[8:9], v[30:31]
	v_add3_u32 v130, 0, v131, v135
	v_add_f64 v[70:71], v[30:31], v[62:63]
	v_add_f64 v[86:87], v[40:41], v[42:43]
	s_waitcnt lgkmcnt(1)
	v_add_f64 v[52:53], v[16:17], v[52:53]
	v_add_f64 v[80:81], v[40:41], -v[42:43]
	s_waitcnt lgkmcnt(0)
	v_add_f64 v[40:41], v[12:13], v[40:41]
	v_add_f64 v[74:75], v[24:25], v[66:67]
	;; [unrolled: 1-line block ×6, first 2 shown]
	v_fma_f64 v[4:5], v[46:47], -0.5, v[4:5]
	v_add_f64 v[60:61], v[60:61], -v[56:57]
	v_add_f64 v[46:47], v[82:83], -v[22:23]
	v_add_f64 v[116:117], v[36:37], v[38:39]
	v_fma_f64 v[16:17], v[64:65], -0.5, v[16:17]
	v_fma_f64 v[6:7], v[50:51], -0.5, v[6:7]
	;; [unrolled: 1-line block ×3, first 2 shown]
	v_add_f64 v[118:119], v[0:1], v[26:27]
	v_add_f64 v[30:31], v[30:31], -v[62:63]
	v_add_f64 v[96:97], v[14:15], v[34:35]
	v_add_f64 v[34:35], v[34:35], -v[32:33]
	v_add_f64 v[24:25], v[24:25], -v[66:67]
	v_fma_f64 v[8:9], v[70:71], -0.5, v[8:9]
	v_fma_f64 v[12:13], v[86:87], -0.5, v[12:13]
	v_add_f64 v[120:121], v[92:93], v[36:37]
	v_add_f64 v[36:37], v[36:37], -v[38:39]
	v_add_f64 v[26:27], v[26:27], -v[58:59]
	v_fma_f64 v[10:11], v[74:75], -0.5, v[10:11]
	v_add_f64 v[22:23], v[54:55], v[22:23]
	v_fma_f64 v[14:15], v[94:95], -0.5, v[14:15]
	v_add_f64 v[20:21], v[44:45], v[20:21]
	;; [unrolled: 2-line block ×3, first 2 shown]
	v_add_f64 v[40:41], v[40:41], v[42:43]
	v_fma_f64 v[42:43], v[48:49], s[4:5], v[4:5]
	v_fma_f64 v[54:55], v[116:117], -0.5, v[92:93]
	v_fma_f64 v[64:65], v[2:3], s[6:7], v[16:17]
	v_add_f64 v[50:51], v[84:85], v[66:67]
	v_fma_f64 v[4:5], v[48:49], s[6:7], v[4:5]
	v_fma_f64 v[66:67], v[2:3], s[4:5], v[16:17]
	v_add_f64 v[56:57], v[72:73], v[56:57]
	v_fma_f64 v[48:49], v[60:61], s[4:5], v[6:7]
	v_fma_f64 v[68:69], v[46:47], s[6:7], v[18:19]
	;; [unrolled: 1-line block ×4, first 2 shown]
	v_add_f64 v[44:45], v[78:79], v[62:63]
	v_add_f64 v[52:53], v[118:119], v[58:59]
	v_fma_f64 v[58:59], v[80:81], s[4:5], v[8:9]
	v_fma_f64 v[70:71], v[30:31], s[6:7], v[12:13]
	;; [unrolled: 1-line block ×5, first 2 shown]
	v_add_f64 v[32:33], v[96:97], v[32:33]
	v_fma_f64 v[72:73], v[24:25], s[6:7], v[14:15]
	v_fma_f64 v[10:11], v[34:35], s[6:7], v[10:11]
	;; [unrolled: 1-line block ×4, first 2 shown]
	v_add_f64 v[62:63], v[120:121], v[38:39]
	v_fma_f64 v[74:75], v[26:27], s[6:7], v[54:55]
	v_fma_f64 v[0:1], v[36:37], s[6:7], v[0:1]
	;; [unrolled: 1-line block ×3, first 2 shown]
	s_barrier
	buffer_gl0_inv
	ds_write2_b64 v127, v[20:21], v[42:43] offset1:3
	ds_write_b64 v127, v[4:5] offset:48
	ds_write2_b64 v124, v[22:23], v[48:49] offset1:3
	ds_write_b64 v124, v[6:7] offset:48
	;; [unrolled: 2-line block ×5, first 2 shown]
	s_waitcnt lgkmcnt(0)
	s_barrier
	buffer_gl0_inv
	ds_read2_b64 v[4:7], v102 offset1:135
	ds_read2_b64 v[0:3], v105 offset0:14 offset1:149
	ds_read_b64 v[92:93], v102 offset:15120
	ds_read2_b64 v[36:39], v104 offset0:42 offset1:177
	ds_read2_b64 v[12:15], v108 offset0:56 offset1:191
	ds_read2_b64 v[20:23], v106 offset0:84 offset1:219
	ds_read2_b64 v[16:19], v89 offset0:28 offset1:163
	ds_read2_b64 v[8:11], v107 offset0:70 offset1:205
	s_waitcnt lgkmcnt(0)
	s_barrier
	buffer_gl0_inv
	ds_write2_b64 v127, v[28:29], v[64:65] offset1:3
	ds_write_b64 v127, v[66:67] offset:48
	ds_write2_b64 v124, v[56:57], v[68:69] offset1:3
	ds_write_b64 v124, v[46:47] offset:48
	;; [unrolled: 2-line block ×5, first 2 shown]
	s_waitcnt lgkmcnt(0)
	s_barrier
	buffer_gl0_inv
	s_clause 0x1
	global_load_dwordx4 v[44:47], v136, s[8:9] offset:112
	global_load_dwordx4 v[80:83], v125, s[8:9] offset:112
	v_mul_u32_u24_sdwa v24, v103, v126 dst_sel:DWORD dst_unused:UNUSED_PAD src0_sel:WORD_0 src1_sel:DWORD
	s_clause 0x1
	global_load_dwordx4 v[56:59], v136, s[8:9] offset:144
	global_load_dwordx4 v[28:31], v125, s[8:9] offset:144
	v_sub_nc_u16 v116, v88, v98
	v_lshlrev_b32_sdwa v100, v113, v100 dst_sel:DWORD dst_unused:UNUSED_PAD src0_sel:DWORD src1_sel:WORD_0
	v_lshrrev_b32_e32 v117, 19, v24
	v_lshrrev_b16 v116, 1, v116
	v_mul_lo_u16 v24, v117, 9
	v_and_b32_e32 v116, 0x7f, v116
	v_sub_nc_u16 v118, v103, v24
	v_lshlrev_b32_sdwa v64, v99, v118 dst_sel:DWORD dst_unused:UNUSED_PAD src0_sel:DWORD src1_sel:WORD_0
	s_clause 0x7
	global_load_dwordx4 v[24:27], v125, s[8:9] offset:96
	global_load_dwordx4 v[32:35], v64, s[8:9] offset:96
	;; [unrolled: 1-line block ×8, first 2 shown]
	ds_read2_b64 v[84:87], v104 offset0:42 offset1:177
	ds_read2_b64 v[76:79], v106 offset0:84 offset1:219
	;; [unrolled: 1-line block ×5, first 2 shown]
	ds_read_b64 v[129:130], v102 offset:15120
	v_lshlrev_b32_sdwa v118, v113, v118 dst_sel:DWORD dst_unused:UNUSED_PAD src0_sel:DWORD src1_sel:WORD_0
	s_waitcnt vmcnt(11) lgkmcnt(5)
	v_mul_f64 v[94:95], v[84:85], v[46:47]
	v_mul_f64 v[96:97], v[36:37], v[46:47]
	s_waitcnt vmcnt(10)
	v_mul_f64 v[46:47], v[86:87], v[82:83]
	v_mul_f64 v[127:128], v[38:39], v[82:83]
	s_waitcnt vmcnt(9) lgkmcnt(4)
	v_mul_f64 v[131:132], v[76:77], v[58:59]
	v_mul_f64 v[58:59], v[20:21], v[58:59]
	s_waitcnt vmcnt(8)
	v_mul_f64 v[133:134], v[78:79], v[30:31]
	v_mul_f64 v[30:31], v[22:23], v[30:31]
	v_fma_f64 v[36:37], v[36:37], v[44:45], -v[94:95]
	v_fma_f64 v[44:45], v[84:85], v[44:45], v[96:97]
	v_fma_f64 v[38:39], v[38:39], v[80:81], -v[46:47]
	s_waitcnt vmcnt(6) lgkmcnt(3)
	v_mul_f64 v[46:47], v[74:75], v[34:35]
	v_fma_f64 v[80:81], v[86:87], v[80:81], v[127:128]
	s_waitcnt vmcnt(5) lgkmcnt(2)
	v_mul_f64 v[86:87], v[121:122], v[42:43]
	s_waitcnt vmcnt(4)
	v_mul_f64 v[96:97], v[119:120], v[50:51]
	s_waitcnt vmcnt(3) lgkmcnt(1)
	v_mul_f64 v[127:128], v[123:124], v[54:55]
	s_waitcnt vmcnt(2)
	v_mul_f64 v[135:136], v[125:126], v[62:63]
	ds_read2_b64 v[82:85], v105 offset0:14 offset1:149
	v_mul_f64 v[94:95], v[72:73], v[26:27]
	v_fma_f64 v[20:21], v[20:21], v[56:57], -v[131:132]
	v_fma_f64 v[56:57], v[76:77], v[56:57], v[58:59]
	s_waitcnt vmcnt(1) lgkmcnt(1)
	v_mul_f64 v[58:59], v[129:130], v[66:67]
	v_mul_f64 v[26:27], v[16:17], v[26:27]
	v_fma_f64 v[22:23], v[22:23], v[28:29], -v[133:134]
	v_fma_f64 v[28:29], v[78:79], v[28:29], v[30:31]
	v_fma_f64 v[46:47], v[18:19], v[32:33], -v[46:47]
	v_mul_f64 v[18:19], v[18:19], v[34:35]
	v_mul_f64 v[34:35], v[14:15], v[42:43]
	v_fma_f64 v[14:15], v[14:15], v[40:41], -v[86:87]
	s_waitcnt vmcnt(0) lgkmcnt(0)
	v_mul_f64 v[76:77], v[84:85], v[70:71]
	v_fma_f64 v[42:43], v[12:13], v[48:49], -v[96:97]
	v_mul_f64 v[12:13], v[12:13], v[50:51]
	v_mul_f64 v[50:51], v[8:9], v[54:55]
	v_fma_f64 v[54:55], v[8:9], v[52:53], -v[127:128]
	v_fma_f64 v[86:87], v[10:11], v[60:61], -v[135:136]
	v_mul_f64 v[8:9], v[10:11], v[62:63]
	v_mul_f64 v[10:11], v[2:3], v[70:71]
	;; [unrolled: 1-line block ×3, first 2 shown]
	v_fma_f64 v[16:17], v[16:17], v[24:25], -v[94:95]
	v_fma_f64 v[58:59], v[92:93], v[64:65], -v[58:59]
	v_fma_f64 v[24:25], v[72:73], v[24:25], v[26:27]
	v_add_nc_u16 v70, v116, v98
	v_mul_u32_u24_sdwa v71, v111, v139 dst_sel:DWORD dst_unused:UNUSED_PAD src0_sel:WORD_0 src1_sel:DWORD
	v_lshlrev_b32_sdwa v67, v113, v114 dst_sel:DWORD dst_unused:UNUSED_PAD src0_sel:DWORD src1_sel:BYTE_0
	v_mul_u32_u24_sdwa v66, v101, v137 dst_sel:DWORD dst_unused:UNUSED_PAD src0_sel:WORD_0 src1_sel:DWORD
	v_mul_u32_u24_e32 v101, 0x168, v117
	v_lshrrev_b16 v114, 5, v70
	v_lshrrev_b32_e32 v116, 19, v71
	v_fma_f64 v[18:19], v[74:75], v[32:33], v[18:19]
	v_fma_f64 v[30:31], v[121:122], v[40:41], v[34:35]
	v_add_f64 v[70:71], v[14:15], -v[20:21]
	v_fma_f64 v[2:3], v[2:3], v[68:69], -v[76:77]
	v_add3_u32 v140, 0, v66, v67
	v_fma_f64 v[12:13], v[119:120], v[48:49], v[12:13]
	v_fma_f64 v[40:41], v[123:124], v[52:53], v[50:51]
	v_add_f64 v[119:120], v[22:23], -v[54:55]
	v_add_f64 v[72:73], v[42:43], v[86:87]
	v_fma_f64 v[26:27], v[125:126], v[60:61], v[8:9]
	v_fma_f64 v[34:35], v[84:85], v[68:69], v[10:11]
	;; [unrolled: 1-line block ×3, first 2 shown]
	v_add_f64 v[78:79], v[16:17], -v[38:39]
	v_add_f64 v[74:75], v[46:47], v[58:59]
	v_add_f64 v[96:97], v[24:25], v[28:29]
	ds_read2_b64 v[8:11], v102 offset1:135
	v_add_f64 v[60:61], v[36:37], v[14:15]
	v_add_f64 v[64:65], v[38:39], v[54:55]
	;; [unrolled: 1-line block ×5, first 2 shown]
	v_add_f64 v[121:122], v[38:39], -v[16:17]
	v_add_f64 v[127:128], v[54:55], -v[22:23]
	v_add_f64 v[84:85], v[44:45], v[30:31]
	v_add_f64 v[131:132], v[46:47], -v[42:43]
	v_add_f64 v[68:69], v[36:37], -v[2:3]
	v_add_f64 v[62:63], v[2:3], v[20:21]
	v_add_f64 v[52:53], v[4:5], v[2:3]
	;; [unrolled: 1-line block ×3, first 2 shown]
	v_add_f64 v[133:134], v[58:59], -v[86:87]
	v_fma_f64 v[72:73], v[72:73], -0.5, v[0:1]
	v_add_f64 v[123:124], v[12:13], v[26:27]
	v_add_f64 v[92:93], v[34:35], v[56:57]
	;; [unrolled: 1-line block ×4, first 2 shown]
	v_fma_f64 v[0:1], v[74:75], -0.5, v[0:1]
	v_add_f64 v[74:75], v[34:35], -v[44:45]
	s_waitcnt lgkmcnt(0)
	v_add_f64 v[135:136], v[8:9], v[34:35]
	v_add_f64 v[119:120], v[28:29], -v[40:41]
	v_fma_f64 v[60:61], v[60:61], -0.5, v[4:5]
	v_add_f64 v[137:138], v[44:45], -v[34:35]
	v_add3_u32 v142, 0, v101, v118
	v_add_f64 v[34:35], v[34:35], -v[56:57]
	v_mul_u32_u24_e32 v98, 0x168, v115
	v_add_f64 v[48:49], v[2:3], -v[36:37]
	v_fma_f64 v[84:85], v[84:85], -0.5, v[8:9]
	v_add_f64 v[50:51], v[20:21], -v[14:15]
	v_add_f64 v[68:69], v[68:69], v[70:71]
	v_add_f64 v[70:71], v[24:25], -v[80:81]
	v_fma_f64 v[4:5], v[62:63], -0.5, v[4:5]
	v_fma_f64 v[62:63], v[64:65], -0.5, v[6:7]
	v_fma_f64 v[6:7], v[66:67], -0.5, v[6:7]
	v_add_f64 v[64:65], v[42:43], -v[46:47]
	v_add_f64 v[66:67], v[86:87], -v[58:59]
	v_fma_f64 v[8:9], v[92:93], -0.5, v[8:9]
	v_fma_f64 v[92:93], v[94:95], -0.5, v[10:11]
	;; [unrolled: 1-line block ×3, first 2 shown]
	v_add_f64 v[96:97], v[56:57], -v[30:31]
	v_add_f64 v[10:11], v[10:11], v[24:25]
	v_fma_f64 v[123:124], v[123:124], -0.5, v[82:83]
	v_fma_f64 v[125:126], v[125:126], -0.5, v[82:83]
	v_add_f64 v[82:83], v[82:83], v[18:19]
	v_add_f64 v[52:53], v[52:53], v[36:37]
	;; [unrolled: 1-line block ×3, first 2 shown]
	v_add_f64 v[44:45], v[44:45], -v[30:31]
	v_add3_u32 v98, 0, v98, v100
	v_add_f64 v[100:101], v[121:122], v[127:128]
	v_add_f64 v[121:122], v[80:81], -v[24:25]
	v_add_f64 v[127:128], v[131:132], v[133:134]
	v_add_f64 v[131:132], v[40:41], -v[28:29]
	;; [unrolled: 2-line block ×3, first 2 shown]
	v_add_f64 v[133:134], v[32:33], -v[26:27]
	v_add_f64 v[24:25], v[24:25], -v[28:29]
	v_add_f64 v[76:77], v[76:77], v[38:39]
	v_add_f64 v[64:65], v[64:65], v[66:67]
	v_add_f64 v[66:67], v[18:19], -v[12:13]
	v_add_f64 v[129:130], v[129:130], v[42:43]
	v_add_f64 v[2:3], v[2:3], -v[20:21]
	;; [unrolled: 2-line block ×4, first 2 shown]
	v_add_f64 v[18:19], v[18:19], -v[32:33]
	v_add_f64 v[82:83], v[82:83], v[12:13]
	v_add_f64 v[12:13], v[12:13], -v[26:27]
	v_add_f64 v[36:37], v[36:37], -v[14:15]
	;; [unrolled: 1-line block ×4, first 2 shown]
	v_add_f64 v[14:15], v[52:53], v[14:15]
	v_add_f64 v[46:47], v[46:47], -v[58:59]
	v_add_f64 v[42:43], v[42:43], -v[86:87]
	v_fma_f64 v[52:53], v[34:35], s[12:13], v[60:61]
	v_fma_f64 v[60:61], v[34:35], s[18:19], v[60:61]
	v_add_f64 v[48:49], v[48:49], v[50:51]
	v_add_f64 v[50:51], v[30:31], -v[56:57]
	v_add_f64 v[120:121], v[121:122], v[131:132]
	v_add_f64 v[54:55], v[76:77], v[54:55]
	;; [unrolled: 1-line block ×3, first 2 shown]
	v_fma_f64 v[76:77], v[24:25], s[12:13], v[62:63]
	v_fma_f64 v[62:63], v[24:25], s[18:19], v[62:63]
	v_add_f64 v[86:87], v[129:130], v[86:87]
	v_add_f64 v[96:97], v[96:97], v[118:119]
	v_fma_f64 v[118:119], v[44:45], s[18:19], v[4:5]
	v_fma_f64 v[4:5], v[44:45], s[12:13], v[4:5]
	;; [unrolled: 1-line block ×7, first 2 shown]
	v_add_f64 v[30:31], v[135:136], v[30:31]
	v_fma_f64 v[135:136], v[2:3], s[18:19], v[84:85]
	v_add_f64 v[10:11], v[10:11], v[40:41]
	v_add_f64 v[26:27], v[82:83], v[26:27]
	v_fma_f64 v[40:41], v[2:3], s[12:13], v[84:85]
	v_fma_f64 v[82:83], v[36:37], s[12:13], v[8:9]
	;; [unrolled: 1-line block ×5, first 2 shown]
	v_add_f64 v[14:15], v[14:15], v[20:21]
	v_fma_f64 v[20:21], v[38:39], s[12:13], v[94:95]
	v_fma_f64 v[94:95], v[38:39], s[18:19], v[94:95]
	;; [unrolled: 1-line block ×12, first 2 shown]
	v_add_f64 v[22:23], v[54:55], v[22:23]
	v_fma_f64 v[54:55], v[24:25], s[10:11], v[131:132]
	v_fma_f64 v[6:7], v[24:25], s[16:17], v[6:7]
	;; [unrolled: 1-line block ×7, first 2 shown]
	v_add_f64 v[50:51], v[137:138], v[50:51]
	v_add_f64 v[56:57], v[30:31], v[56:57]
	v_fma_f64 v[30:31], v[36:37], s[10:11], v[40:41]
	v_fma_f64 v[36:37], v[2:3], s[16:17], v[82:83]
	;; [unrolled: 1-line block ×12, first 2 shown]
	v_add_f64 v[10:11], v[10:11], v[28:29]
	v_fma_f64 v[28:29], v[48:49], s[14:15], v[52:53]
	v_fma_f64 v[52:53], v[68:69], s[14:15], v[118:119]
	;; [unrolled: 1-line block ×19, first 2 shown]
	v_add_f64 v[58:59], v[86:87], v[58:59]
	v_add_f64 v[32:33], v[26:27], v[32:33]
	v_fma_f64 v[34:35], v[66:67], s[14:15], v[34:35]
	v_mul_lo_u16 v115, v116, 45
	v_mul_lo_u16 v141, v114, 45
	v_fma_f64 v[40:41], v[66:67], s[14:15], v[40:41]
	v_fma_f64 v[42:43], v[96:97], s[14:15], v[42:43]
	v_fma_f64 v[66:67], v[96:97], s[14:15], v[46:47]
	v_fma_f64 v[12:13], v[127:128], s[14:15], v[12:13]
	v_sub_nc_u16 v117, v111, v115
	v_sub_nc_u16 v115, v88, v141
	s_barrier
	buffer_gl0_inv
	ds_write2_b64 v140, v[14:15], v[28:29] offset1:9
	ds_write2_b64 v140, v[52:53], v[4:5] offset0:18 offset1:27
	ds_write_b64 v140, v[44:45] offset:288
	ds_write2_b64 v98, v[22:23], v[48:49] offset1:9
	ds_write2_b64 v98, v[54:55], v[6:7] offset0:18 offset1:27
	ds_write_b64 v98, v[24:25] offset:288
	;; [unrolled: 3-line block ×3, first 2 shown]
	v_lshlrev_b32_sdwa v143, v99, v115 dst_sel:DWORD dst_unused:UNUSED_PAD src0_sel:DWORD src1_sel:BYTE_0
	s_waitcnt lgkmcnt(0)
	s_barrier
	buffer_gl0_inv
	ds_read_b64 v[86:87], v102 offset:15120
	ds_read2_b64 v[4:7], v102 offset1:135
	ds_read2_b64 v[0:3], v105 offset0:14 offset1:149
	ds_read2_b64 v[12:15], v104 offset0:42 offset1:177
	;; [unrolled: 1-line block ×6, first 2 shown]
	s_waitcnt lgkmcnt(0)
	s_barrier
	buffer_gl0_inv
	ds_write2_b64 v140, v[56:57], v[64:65] offset1:9
	ds_write2_b64 v140, v[36:37], v[50:51] offset0:18 offset1:27
	ds_write_b64 v140, v[68:69] offset:288
	ds_write2_b64 v98, v[10:11], v[8:9] offset1:9
	ds_write2_b64 v98, v[20:21], v[70:71] offset0:18 offset1:27
	ds_write_b64 v98, v[38:39] offset:288
	;; [unrolled: 3-line block ×3, first 2 shown]
	s_waitcnt lgkmcnt(0)
	s_barrier
	buffer_gl0_inv
	global_load_dwordx4 v[20:23], v143, s[8:9] offset:688
	v_mul_u32_u24_sdwa v139, v103, v139 dst_sel:DWORD dst_unused:UNUSED_PAD src0_sel:WORD_0 src1_sel:DWORD
	v_lshlrev_b32_sdwa v141, v99, v117 dst_sel:DWORD dst_unused:UNUSED_PAD src0_sel:DWORD src1_sel:WORD_0
	global_load_dwordx4 v[40:43], v143, s[8:9] offset:720
	v_mul_u32_u24_e32 v116, 0x708, v116
	v_lshlrev_b32_sdwa v117, v113, v117 dst_sel:DWORD dst_unused:UNUSED_PAD src0_sel:DWORD src1_sel:WORD_0
	v_lshrrev_b32_e32 v118, 19, v139
	global_load_dwordx4 v[32:35], v141, s[8:9] offset:688
	v_lshlrev_b32_sdwa v115, v113, v115 dst_sel:DWORD dst_unused:UNUSED_PAD src0_sel:DWORD src1_sel:BYTE_0
	v_mul_lo_u16 v8, v118, 45
	v_mul_u32_u24_e32 v118, 0x708, v118
	v_sub_nc_u16 v119, v103, v8
	v_lshlrev_b32_sdwa v8, v99, v119 dst_sel:DWORD dst_unused:UNUSED_PAD src0_sel:DWORD src1_sel:WORD_0
	s_clause 0x8
	global_load_dwordx4 v[48:51], v141, s[8:9] offset:720
	global_load_dwordx4 v[52:55], v141, s[8:9] offset:672
	;; [unrolled: 1-line block ×9, first 2 shown]
	ds_read2_b64 v[92:95], v104 offset0:42 offset1:177
	ds_read2_b64 v[96:99], v106 offset0:84 offset1:219
	;; [unrolled: 1-line block ×6, first 2 shown]
	ds_read_b64 v[136:137], v102 offset:15120
	v_lshlrev_b32_sdwa v119, v113, v119 dst_sel:DWORD dst_unused:UNUSED_PAD src0_sel:DWORD src1_sel:WORD_0
	s_waitcnt vmcnt(11) lgkmcnt(6)
	v_mul_f64 v[36:37], v[92:93], v[22:23]
	v_mul_f64 v[22:23], v[12:13], v[22:23]
	s_waitcnt vmcnt(10) lgkmcnt(5)
	v_mul_f64 v[132:133], v[96:97], v[42:43]
	v_mul_f64 v[42:43], v[16:17], v[42:43]
	s_waitcnt vmcnt(9)
	v_mul_f64 v[56:57], v[94:95], v[34:35]
	v_mul_f64 v[100:101], v[14:15], v[34:35]
	s_waitcnt vmcnt(8)
	v_mul_f64 v[134:135], v[98:99], v[50:51]
	v_mul_f64 v[50:51], v[18:19], v[50:51]
	s_waitcnt vmcnt(6) lgkmcnt(4)
	v_mul_f64 v[138:139], v[122:123], v[60:61]
	v_mul_f64 v[60:61], v[30:31], v[60:61]
	s_waitcnt vmcnt(4) lgkmcnt(3)
	v_mul_f64 v[140:141], v[124:125], v[68:69]
	v_fma_f64 v[38:39], v[12:13], v[20:21], -v[36:37]
	v_fma_f64 v[34:35], v[92:93], v[20:21], v[22:23]
	v_mul_f64 v[92:93], v[120:121], v[54:55]
	v_mul_f64 v[54:55], v[28:29], v[54:55]
	v_fma_f64 v[12:13], v[96:97], v[40:41], v[42:43]
	s_waitcnt vmcnt(0) lgkmcnt(0)
	v_mul_f64 v[96:97], v[136:137], v[84:85]
	v_fma_f64 v[20:21], v[16:17], v[40:41], -v[132:133]
	v_fma_f64 v[36:37], v[14:15], v[32:33], -v[56:57]
	v_mul_f64 v[56:57], v[126:127], v[64:65]
	v_fma_f64 v[22:23], v[94:95], v[32:33], v[100:101]
	v_mul_f64 v[32:33], v[128:129], v[72:73]
	v_mul_f64 v[100:101], v[10:11], v[80:81]
	;; [unrolled: 1-line block ×6, first 2 shown]
	v_fma_f64 v[14:15], v[18:19], v[48:49], -v[134:135]
	ds_read2_b64 v[132:135], v102 offset1:135
	v_fma_f64 v[16:17], v[30:31], v[58:59], -v[138:139]
	s_waitcnt lgkmcnt(0)
	s_barrier
	buffer_gl0_inv
	v_fma_f64 v[18:19], v[28:29], v[52:53], -v[92:93]
	v_mul_f64 v[28:29], v[24:25], v[68:69]
	v_mul_f64 v[68:69], v[2:3], v[80:81]
	;; [unrolled: 1-line block ×3, first 2 shown]
	v_fma_f64 v[54:55], v[120:121], v[52:53], v[54:55]
	v_fma_f64 v[42:43], v[26:27], v[62:63], -v[56:57]
	v_fma_f64 v[26:27], v[24:25], v[66:67], -v[140:141]
	;; [unrolled: 1-line block ×4, first 2 shown]
	v_fma_f64 v[32:33], v[98:99], v[48:49], v[50:51]
	v_fma_f64 v[50:51], v[126:127], v[62:63], v[64:65]
	;; [unrolled: 1-line block ×3, first 2 shown]
	v_fma_f64 v[30:31], v[46:47], v[74:75], -v[94:95]
	v_fma_f64 v[46:47], v[130:131], v[74:75], v[76:77]
	v_fma_f64 v[2:3], v[86:87], v[82:83], -v[96:97]
	v_fma_f64 v[44:45], v[122:123], v[58:59], v[60:61]
	v_add_f64 v[128:129], v[0:1], v[16:17]
	v_add_f64 v[72:73], v[18:19], v[14:15]
	v_fma_f64 v[52:53], v[124:125], v[66:67], v[28:29]
	v_fma_f64 v[56:57], v[10:11], v[78:79], v[68:69]
	;; [unrolled: 1-line block ×3, first 2 shown]
	v_add_f64 v[120:121], v[36:37], -v[18:19]
	v_add_f64 v[84:85], v[6:7], v[18:19]
	v_add_f64 v[60:61], v[38:39], v[42:43]
	v_add_f64 v[62:63], v[20:21], -v[42:43]
	v_add_f64 v[68:69], v[36:37], v[40:41]
	v_add_f64 v[64:65], v[24:25], v[20:21]
	;; [unrolled: 1-line block ×5, first 2 shown]
	v_add_f64 v[28:29], v[24:25], -v[38:39]
	v_add_f64 v[66:67], v[38:39], -v[24:25]
	;; [unrolled: 1-line block ×3, first 2 shown]
	v_add_f64 v[76:77], v[26:27], v[30:31]
	v_add_f64 v[78:79], v[16:17], v[2:3]
	v_add_f64 v[126:127], v[40:41], -v[14:15]
	v_add_f64 v[138:139], v[16:17], -v[26:27]
	;; [unrolled: 1-line block ×3, first 2 shown]
	v_add_f64 v[58:59], v[4:5], v[24:25]
	v_add_f64 v[74:75], v[18:19], -v[36:37]
	v_add_f64 v[130:131], v[52:53], v[46:47]
	v_add_f64 v[100:101], v[56:57], v[12:13]
	;; [unrolled: 1-line block ×3, first 2 shown]
	v_add_f64 v[80:81], v[14:15], -v[40:41]
	v_fma_f64 v[92:93], v[72:73], -0.5, v[6:7]
	v_fma_f64 v[94:95], v[60:61], -0.5, v[4:5]
	v_add_f64 v[150:151], v[132:133], v[56:57]
	v_fma_f64 v[86:87], v[68:69], -0.5, v[6:7]
	v_fma_f64 v[96:97], v[64:65], -0.5, v[4:5]
	v_add_f64 v[152:153], v[34:35], -v[56:57]
	v_fma_f64 v[68:69], v[98:99], -0.5, v[132:133]
	v_fma_f64 v[60:61], v[122:123], -0.5, v[134:135]
	;; [unrolled: 1-line block ×3, first 2 shown]
	v_add_f64 v[122:123], v[50:51], -v[12:13]
	v_add_f64 v[124:125], v[54:55], -v[22:23]
	v_fma_f64 v[76:77], v[76:77], -0.5, v[0:1]
	v_fma_f64 v[82:83], v[78:79], -0.5, v[0:1]
	v_add_f64 v[98:99], v[8:9], v[44:45]
	v_add_f64 v[72:73], v[120:121], v[126:127]
	v_add_f64 v[126:127], v[44:45], -v[52:53]
	v_add_nc_u32_e32 v120, 0xffffffa6, v88
	v_add_f64 v[146:147], v[56:57], -v[34:35]
	v_fma_f64 v[4:5], v[130:131], -0.5, v[8:9]
	v_fma_f64 v[64:65], v[100:101], -0.5, v[132:133]
	v_add_f64 v[132:133], v[32:33], -v[48:49]
	v_add_f64 v[100:101], v[134:135], v[54:55]
	v_add_f64 v[130:131], v[22:23], -v[54:55]
	v_add_f64 v[134:135], v[48:49], -v[32:33]
	v_fma_f64 v[0:1], v[136:137], -0.5, v[8:9]
	v_add_f64 v[8:9], v[28:29], v[62:63]
	v_add_f64 v[62:63], v[66:67], v[70:71]
	;; [unrolled: 1-line block ×3, first 2 shown]
	v_add_f64 v[136:137], v[10:11], -v[46:47]
	v_add_f64 v[138:139], v[52:53], -v[44:45]
	;; [unrolled: 1-line block ×3, first 2 shown]
	v_lshlrev_b32_e32 v28, 1, v88
	v_mov_b32_e32 v29, 0
	v_add_f64 v[66:67], v[74:75], v[80:81]
	v_add_f64 v[80:81], v[152:153], v[122:123]
	v_cndmask_b32_e64 v120, v120, v111, s0
	v_add_f64 v[56:57], v[56:57], -v[12:13]
	v_add_f64 v[84:85], v[84:85], v[36:37]
	v_add_f64 v[98:99], v[98:99], v[52:53]
	v_add_f64 v[54:55], v[54:55], -v[32:33]
	v_add_f64 v[142:143], v[26:27], -v[16:17]
	;; [unrolled: 1-line block ×3, first 2 shown]
	v_add_f64 v[121:122], v[124:125], v[132:133]
	v_add_f64 v[132:133], v[58:59], v[38:39]
	v_add_f64 v[38:39], v[38:39], -v[42:43]
	v_add_f64 v[123:124], v[130:131], v[134:135]
	v_lshlrev_b64 v[130:131], 4, v[28:29]
	v_add_nc_u32_e32 v28, 0x5a, v28
	v_mov_b32_e32 v135, v29
	v_lshlrev_b32_e32 v134, 1, v120
	v_add_f64 v[125:126], v[126:127], v[136:137]
	v_add_f64 v[100:101], v[100:101], v[22:23]
	;; [unrolled: 1-line block ×3, first 2 shown]
	v_lshlrev_b64 v[138:139], 4, v[28:29]
	v_add_co_u32 v58, s0, s8, v130
	v_add_co_ci_u32_e64 v59, s0, s9, v131, s0
	v_lshlrev_b64 v[130:131], 4, v[134:135]
	v_add_co_u32 v28, s0, s8, v138
	v_add_co_ci_u32_e64 v127, s0, s9, v139, s0
	v_add_f64 v[22:23], v[22:23], -v[48:49]
	v_add_co_u32 v138, s0, s8, v130
	v_add_co_ci_u32_e64 v139, s0, s9, v131, s0
	v_add_co_u32 v130, s0, 0x800, v28
	v_add_co_ci_u32_e64 v131, s0, 0, v127, s0
	v_add_f64 v[42:43], v[132:133], v[42:43]
	v_add_co_u32 v132, s0, 0xde0, v28
	v_add_co_ci_u32_e64 v133, s0, 0, v127, s0
	v_add_f64 v[127:128], v[128:129], v[26:27]
	v_add_f64 v[134:135], v[150:151], v[34:35]
	v_add_f64 v[34:35], v[34:35], -v[50:51]
	v_add_f64 v[26:27], v[26:27], -v[30:31]
	;; [unrolled: 1-line block ×4, first 2 shown]
	v_add_f64 v[40:41], v[84:85], v[40:41]
	v_add_f64 v[44:45], v[44:45], -v[10:11]
	v_add_f64 v[24:25], v[24:25], -v[20:21]
	v_add_f64 v[46:47], v[98:99], v[46:47]
	v_fma_f64 v[98:99], v[54:55], s[12:13], v[86:87]
	v_fma_f64 v[86:87], v[54:55], s[18:19], v[86:87]
	v_add_f64 v[18:19], v[18:19], -v[14:15]
	v_add3_u32 v140, 0, v116, v117
	v_add_f64 v[16:17], v[16:17], -v[2:3]
	v_add_f64 v[148:149], v[12:13], -v[50:51]
	v_add_f64 v[48:49], v[100:101], v[48:49]
	v_add_f64 v[20:21], v[42:43], v[20:21]
	v_fma_f64 v[42:43], v[22:23], s[18:19], v[92:93]
	v_fma_f64 v[92:93], v[22:23], s[12:13], v[92:93]
	v_add_f64 v[78:79], v[142:143], v[144:145]
	v_mov_b32_e32 v142, 0x91a3
	v_add_f64 v[30:31], v[127:128], v[30:31]
	v_add3_u32 v127, 0, v118, v119
	v_fma_f64 v[118:119], v[56:57], s[12:13], v[94:95]
	v_fma_f64 v[94:95], v[56:57], s[18:19], v[94:95]
	;; [unrolled: 1-line block ×4, first 2 shown]
	v_add_f64 v[14:15], v[40:41], v[14:15]
	v_fma_f64 v[40:41], v[44:45], s[12:13], v[76:77]
	v_fma_f64 v[76:77], v[44:45], s[18:19], v[76:77]
	v_add_f64 v[50:51], v[134:135], v[50:51]
	v_fma_f64 v[98:99], v[22:23], s[10:11], v[98:99]
	v_fma_f64 v[22:23], v[22:23], s[16:17], v[86:87]
	v_fma_f64 v[86:87], v[38:39], s[12:13], v[64:65]
	v_fma_f64 v[64:65], v[38:39], s[18:19], v[64:65]
	v_mul_u32_u24_sdwa v28, v109, v142 dst_sel:DWORD dst_unused:UNUSED_PAD src0_sel:WORD_0 src1_sel:DWORD
	v_add_f64 v[74:75], v[146:147], v[148:149]
	v_add_f64 v[32:33], v[48:49], v[32:33]
	v_mul_u32_u24_sdwa v129, v110, v142 dst_sel:DWORD dst_unused:UNUSED_PAD src0_sel:WORD_0 src1_sel:DWORD
	v_fma_f64 v[42:43], v[54:55], s[10:11], v[42:43]
	v_fma_f64 v[54:55], v[54:55], s[16:17], v[92:93]
	;; [unrolled: 1-line block ×4, first 2 shown]
	v_add_f64 v[2:3], v[30:31], v[2:3]
	v_fma_f64 v[30:31], v[18:19], s[18:19], v[60:61]
	v_fma_f64 v[118:119], v[34:35], s[10:11], v[118:119]
	;; [unrolled: 1-line block ×9, first 2 shown]
	v_add_f64 v[50:51], v[50:51], v[12:13]
	v_fma_f64 v[12:13], v[26:27], s[12:13], v[0:1]
	v_fma_f64 v[0:1], v[26:27], s[18:19], v[0:1]
	;; [unrolled: 1-line block ×13, first 2 shown]
	v_lshrrev_b32_e32 v28, 23, v28
	v_add_f64 v[46:47], v[46:47], v[10:11]
	v_fma_f64 v[94:95], v[44:45], s[10:11], v[94:95]
	v_fma_f64 v[44:45], v[44:45], s[16:17], v[82:83]
	;; [unrolled: 1-line block ×16, first 2 shown]
	v_mov_b32_e32 v141, 0x708
	v_fma_f64 v[38:39], v[74:75], s[14:15], v[38:39]
	v_lshrrev_b32_e32 v129, 23, v129
	v_fma_f64 v[30:31], v[121:122], s[14:15], v[30:31]
	v_add_co_u32 v84, s0, 0xde0, v138
	v_fma_f64 v[56:57], v[78:79], s[14:15], v[94:95]
	v_fma_f64 v[44:45], v[78:79], s[14:15], v[44:45]
	;; [unrolled: 1-line block ×11, first 2 shown]
	v_mul_lo_u16 v128, 0xe1, v28
	v_add_co_ci_u32_e64 v85, s0, 0, v139, s0
	v_add_co_u32 v138, s0, 0x800, v138
	v_mul_u32_u24_sdwa v114, v114, v141 dst_sel:DWORD dst_unused:UNUSED_PAD src0_sel:WORD_0 src1_sel:DWORD
	v_mul_lo_u16 v129, 0xe1, v129
	v_add_co_ci_u32_e64 v139, s0, 0, v139, s0
	v_add_co_u32 v100, s0, 0xde0, v58
	v_sub_nc_u16 v128, v109, v128
	v_add_co_ci_u32_e64 v101, s0, 0, v59, s0
	v_fma_f64 v[60:61], v[123:124], s[14:15], v[60:61]
	v_fma_f64 v[70:71], v[123:124], s[14:15], v[6:7]
	;; [unrolled: 1-line block ×3, first 2 shown]
	v_add3_u32 v114, 0, v114, v115
	v_sub_nc_u16 v129, v110, v129
	v_lshlrev_b32_sdwa v112, v112, v128 dst_sel:DWORD dst_unused:UNUSED_PAD src0_sel:DWORD src1_sel:WORD_0
	v_add_co_u32 v96, s0, 0x800, v58
	ds_write2_b64 v114, v[20:21], v[16:17] offset1:45
	ds_write2_b64 v114, v[26:27], v[48:49] offset0:90 offset1:135
	ds_write_b64 v114, v[8:9] offset:1440
	ds_write2_b64 v140, v[14:15], v[34:35] offset1:45
	ds_write2_b64 v140, v[42:43], v[54:55] offset0:90 offset1:135
	ds_write_b64 v140, v[22:23] offset:1440
	;; [unrolled: 3-line block ×3, first 2 shown]
	s_waitcnt lgkmcnt(0)
	s_barrier
	buffer_gl0_inv
	ds_read_b64 v[98:99], v102 offset:15120
	ds_read2_b64 v[0:3], v102 offset1:135
	ds_read2_b64 v[4:7], v89 offset0:28 offset1:163
	ds_read2_b64 v[8:11], v107 offset0:70 offset1:205
	;; [unrolled: 1-line block ×6, first 2 shown]
	s_waitcnt lgkmcnt(0)
	s_barrier
	buffer_gl0_inv
	ds_write2_b64 v114, v[50:51], v[62:63] offset1:45
	ds_write2_b64 v114, v[64:65], v[66:67] offset0:90 offset1:135
	ds_write_b64 v114, v[38:39] offset:1440
	ds_write2_b64 v140, v[32:33], v[30:31] offset1:45
	ds_write2_b64 v140, v[60:61], v[70:71] offset0:90 offset1:135
	ds_write_b64 v140, v[36:37] offset:1440
	;; [unrolled: 3-line block ×3, first 2 shown]
	s_waitcnt lgkmcnt(0)
	s_barrier
	buffer_gl0_inv
	s_clause 0x1
	global_load_dwordx4 v[30:33], v[100:101], off offset:16
	global_load_dwordx4 v[34:37], v[84:85], off offset:16
	v_and_b32_e32 v129, 0xffff, v129
	v_add_co_ci_u32_e64 v97, s0, 0, v59, s0
	v_add_co_u32 v112, s0, s8, v112
	v_add_co_ci_u32_e64 v134, null, s9, 0, s0
	v_lshlrev_b32_e32 v115, 5, v129
	v_add_co_u32 v68, s0, 0xde0, v112
	v_add_co_ci_u32_e64 v69, s0, 0, v134, s0
	v_add_co_u32 v46, s0, s8, v115
	v_add_co_ci_u32_e64 v47, null, s9, 0, s0
	v_add_co_u32 v60, s0, 0x800, v112
	s_clause 0x1
	global_load_dwordx4 v[38:41], v[138:139], off offset:1504
	global_load_dwordx4 v[42:45], v[96:97], off offset:1504
	v_add_co_ci_u32_e64 v61, s0, 0, v134, s0
	v_add_co_u32 v64, s0, 0x800, v46
	v_add_co_ci_u32_e64 v65, s0, 0, v47, s0
	v_add_co_u32 v70, s0, 0xde0, v46
	v_add_co_ci_u32_e64 v71, s0, 0, v47, s0
	s_clause 0x5
	global_load_dwordx4 v[46:49], v[130:131], off offset:1504
	global_load_dwordx4 v[50:53], v[132:133], off offset:16
	;; [unrolled: 1-line block ×6, first 2 shown]
	ds_read2_b64 v[72:75], v107 offset0:70 offset1:205
	ds_read2_b64 v[76:79], v89 offset0:28 offset1:163
	;; [unrolled: 1-line block ×5, first 2 shown]
	ds_read_b64 v[114:115], v102 offset:15120
	v_cmp_lt_u32_e64 s0, 0x59, v88
	v_lshlrev_b32_e32 v116, 3, v120
	v_lshlrev_b32_sdwa v128, v113, v128 dst_sel:DWORD dst_unused:UNUSED_PAD src0_sel:DWORD src1_sel:WORD_0
	v_lshl_add_u32 v126, v88, 3, 0
	v_mul_u32_u24_e32 v28, 0x1518, v28
	v_cndmask_b32_e64 v112, 0, 0x1518, s0
	v_lshl_add_u32 v129, v129, 3, 0
	v_add_nc_u32_e32 v127, 0x1600, v126
	v_add3_u32 v28, 0, v28, v128
	v_add3_u32 v130, 0, v112, v116
	v_add_nc_u32_e32 v128, 0x2a00, v129
	s_waitcnt vmcnt(9) lgkmcnt(5)
	v_mul_f64 v[96:97], v[72:73], v[32:33]
	v_mul_f64 v[32:33], v[8:9], v[32:33]
	s_waitcnt vmcnt(8)
	v_mul_f64 v[100:101], v[74:75], v[36:37]
	v_mul_f64 v[36:37], v[10:11], v[36:37]
	s_waitcnt vmcnt(7) lgkmcnt(3)
	v_mul_f64 v[116:117], v[80:81], v[40:41]
	s_waitcnt vmcnt(6)
	v_mul_f64 v[112:113], v[78:79], v[44:45]
	v_mul_f64 v[44:45], v[6:7], v[44:45]
	v_fma_f64 v[96:97], v[8:9], v[30:31], -v[96:97]
	v_fma_f64 v[30:31], v[72:73], v[30:31], v[32:33]
	v_mul_f64 v[40:41], v[12:13], v[40:41]
	v_fma_f64 v[100:101], v[10:11], v[34:35], -v[100:101]
	s_waitcnt vmcnt(5)
	v_mul_f64 v[118:119], v[82:83], v[48:49]
	s_waitcnt vmcnt(4) lgkmcnt(2)
	v_mul_f64 v[120:121], v[84:85], v[52:53]
	s_waitcnt vmcnt(3)
	v_mul_f64 v[122:123], v[86:87], v[56:57]
	s_waitcnt vmcnt(2) lgkmcnt(1)
	v_mul_f64 v[124:125], v[92:93], v[62:63]
	;; [unrolled: 4-line block ×3, first 2 shown]
	v_mul_f64 v[48:49], v[14:15], v[48:49]
	v_mul_f64 v[52:53], v[20:21], v[52:53]
	v_fma_f64 v[34:35], v[74:75], v[34:35], v[36:37]
	v_mul_f64 v[36:37], v[22:23], v[56:57]
	v_mul_f64 v[56:57], v[24:25], v[62:63]
	;; [unrolled: 1-line block ×4, first 2 shown]
	v_fma_f64 v[70:71], v[6:7], v[42:43], -v[112:113]
	v_fma_f64 v[42:43], v[78:79], v[42:43], v[44:45]
	v_fma_f64 v[44:45], v[12:13], v[38:39], -v[116:117]
	ds_read2_b64 v[6:9], v102 offset1:135
	v_fma_f64 v[38:39], v[80:81], v[38:39], v[40:41]
	ds_read2_b64 v[10:13], v105 offset0:14 offset1:149
	v_fma_f64 v[14:15], v[14:15], v[46:47], -v[118:119]
	v_fma_f64 v[20:21], v[20:21], v[50:51], -v[120:121]
	;; [unrolled: 1-line block ×6, first 2 shown]
	v_fma_f64 v[40:41], v[82:83], v[46:47], v[48:49]
	v_fma_f64 v[46:47], v[84:85], v[50:51], v[52:53]
	s_waitcnt lgkmcnt(0)
	v_fma_f64 v[36:37], v[86:87], v[54:55], v[36:37]
	v_fma_f64 v[48:49], v[92:93], v[60:61], v[56:57]
	;; [unrolled: 1-line block ×4, first 2 shown]
	s_barrier
	buffer_gl0_inv
	v_add_f64 v[56:57], v[70:71], v[96:97]
	v_add_f64 v[54:55], v[0:1], v[70:71]
	;; [unrolled: 1-line block ×3, first 2 shown]
	v_add_f64 v[60:61], v[42:43], -v[30:31]
	v_add_f64 v[66:67], v[42:43], v[30:31]
	v_add_f64 v[42:43], v[6:7], v[42:43]
	;; [unrolled: 1-line block ×9, first 2 shown]
	v_add_f64 v[84:85], v[40:41], -v[46:47]
	v_add_f64 v[92:93], v[40:41], v[46:47]
	v_add_f64 v[40:41], v[10:11], v[40:41]
	;; [unrolled: 1-line block ×3, first 2 shown]
	v_add_f64 v[38:39], v[38:39], -v[34:35]
	v_add_f64 v[112:113], v[50:51], v[52:53]
	v_add_f64 v[82:83], v[16:17], v[14:15]
	;; [unrolled: 1-line block ×4, first 2 shown]
	v_fma_f64 v[0:1], v[56:57], -0.5, v[0:1]
	v_add_f64 v[48:49], v[48:49], -v[36:37]
	v_fma_f64 v[2:3], v[62:63], -0.5, v[2:3]
	v_add_f64 v[116:117], v[76:77], v[50:51]
	v_add_f64 v[50:51], v[50:51], -v[52:53]
	v_add_f64 v[70:71], v[70:71], -v[96:97]
	;; [unrolled: 1-line block ×3, first 2 shown]
	v_fma_f64 v[16:17], v[72:73], -0.5, v[16:17]
	v_add_f64 v[14:15], v[14:15], -v[20:21]
	v_fma_f64 v[18:19], v[78:79], -0.5, v[18:19]
	v_add_f64 v[24:25], v[24:25], -v[22:23]
	;; [unrolled: 2-line block ×3, first 2 shown]
	v_add_f64 v[54:55], v[54:55], v[96:97]
	v_fma_f64 v[6:7], v[66:67], -0.5, v[6:7]
	v_fma_f64 v[8:9], v[68:69], -0.5, v[8:9]
	;; [unrolled: 1-line block ×5, first 2 shown]
	v_add_f64 v[42:43], v[42:43], v[30:31]
	v_add_f64 v[30:31], v[114:115], v[32:33]
	;; [unrolled: 1-line block ×4, first 2 shown]
	v_fma_f64 v[40:41], v[60:61], s[4:5], v[0:1]
	v_fma_f64 v[0:1], v[60:61], s[6:7], v[0:1]
	v_add_f64 v[56:57], v[64:65], v[100:101]
	v_fma_f64 v[46:47], v[38:39], s[4:5], v[2:3]
	v_fma_f64 v[2:3], v[38:39], s[6:7], v[2:3]
	v_add_f64 v[20:21], v[82:83], v[20:21]
	;; [unrolled: 3-line block ×3, first 2 shown]
	v_fma_f64 v[60:61], v[48:49], s[4:5], v[18:19]
	v_fma_f64 v[18:19], v[48:49], s[6:7], v[18:19]
	;; [unrolled: 1-line block ×4, first 2 shown]
	v_add_f64 v[50:51], v[116:117], v[52:53]
	v_fma_f64 v[52:53], v[70:71], s[6:7], v[6:7]
	v_fma_f64 v[64:65], v[70:71], s[4:5], v[6:7]
	;; [unrolled: 1-line block ×10, first 2 shown]
	ds_write2_b64 v102, v[54:55], v[40:41] offset1:225
	ds_write_b64 v102, v[0:1] offset:3600
	ds_write2_b64 v130, v[56:57], v[46:47] offset1:225
	ds_write_b64 v130, v[2:3] offset:3600
	ds_write2_b64 v127, v[20:21], v[38:39] offset0:16 offset1:241
	ds_write_b64 v126, v[16:17] offset:9360
	ds_write2_b64 v28, v[22:23], v[60:61] offset1:225
	ds_write_b64 v28, v[18:19] offset:3600
	ds_write2_b64 v128, v[30:31], v[48:49] offset0:6 offset1:231
	ds_write_b64 v129, v[4:5] offset:14400
	s_waitcnt lgkmcnt(0)
	s_barrier
	buffer_gl0_inv
	ds_read2_b64 v[4:7], v102 offset1:135
	ds_read_b64 v[30:31], v102 offset:15120
	ds_read2_b64 v[8:11], v89 offset0:28 offset1:163
	ds_read2_b64 v[16:19], v107 offset0:70 offset1:205
	;; [unrolled: 1-line block ×6, first 2 shown]
	v_add_f64 v[36:37], v[98:99], v[36:37]
	s_waitcnt lgkmcnt(0)
	s_barrier
	buffer_gl0_inv
	ds_write2_b64 v102, v[42:43], v[52:53] offset1:225
	ds_write_b64 v102, v[64:65] offset:3600
	ds_write2_b64 v130, v[32:33], v[66:67] offset1:225
	ds_write_b64 v130, v[44:45] offset:3600
	ds_write2_b64 v127, v[34:35], v[68:69] offset0:16 offset1:241
	ds_write_b64 v126, v[70:71] offset:9360
	ds_write2_b64 v28, v[36:37], v[72:73] offset1:225
	ds_write_b64 v28, v[74:75] offset:3600
	ds_write2_b64 v128, v[50:51], v[76:77] offset0:6 offset1:231
	ds_write_b64 v129, v[62:63] offset:14400
	s_waitcnt lgkmcnt(0)
	s_barrier
	buffer_gl0_inv
	s_and_saveexec_b32 s0, vcc_lo
	s_cbranch_execz .LBB0_13
; %bb.12:
	v_lshlrev_b32_e32 v28, 1, v110
	v_lshlrev_b64 v[32:33], 4, v[28:29]
	v_lshlrev_b32_e32 v28, 1, v109
	v_lshlrev_b64 v[34:35], 4, v[28:29]
	v_add_co_u32 v38, vcc_lo, s8, v32
	v_add_co_ci_u32_e32 v39, vcc_lo, s9, v33, vcc_lo
	v_lshlrev_b32_e32 v28, 1, v103
	v_add_co_u32 v52, vcc_lo, s8, v34
	v_add_co_ci_u32_e32 v53, vcc_lo, s9, v35, vcc_lo
	v_add_co_u32 v40, vcc_lo, 0x2800, v38
	v_add_co_ci_u32_e32 v41, vcc_lo, 0, v39, vcc_lo
	v_add_co_u32 v32, vcc_lo, 0x2a00, v58
	v_lshlrev_b64 v[48:49], 4, v[28:29]
	v_lshlrev_b32_e32 v28, 1, v111
	v_add_co_ci_u32_e32 v33, vcc_lo, 0, v59, vcc_lo
	v_add_co_u32 v50, vcc_lo, 0x2800, v52
	v_add_co_ci_u32_e32 v51, vcc_lo, 0, v53, vcc_lo
	v_lshlrev_b64 v[36:37], 4, v[28:29]
	v_add_co_u32 v44, vcc_lo, 0x2a00, v38
	v_add_co_ci_u32_e32 v45, vcc_lo, 0, v39, vcc_lo
	v_add_co_u32 v38, vcc_lo, 0x2800, v58
	v_add_co_ci_u32_e32 v39, vcc_lo, 0, v59, vcc_lo
	;; [unrolled: 2-line block ×3, first 2 shown]
	v_add_co_u32 v52, vcc_lo, 0x2a00, v52
	s_clause 0x3
	global_load_dwordx4 v[32:35], v[32:33], off offset:16
	global_load_dwordx4 v[36:39], v[38:39], off offset:512
	global_load_dwordx4 v[40:43], v[40:41], off offset:512
	global_load_dwordx4 v[44:47], v[44:45], off offset:16
	v_add_co_ci_u32_e32 v53, vcc_lo, 0, v53, vcc_lo
	v_add_co_u32 v58, vcc_lo, s8, v48
	v_add_co_ci_u32_e32 v59, vcc_lo, s9, v49, vcc_lo
	s_clause 0x1
	global_load_dwordx4 v[48:51], v[50:51], off offset:512
	global_load_dwordx4 v[52:55], v[52:53], off offset:16
	v_add_co_u32 v56, vcc_lo, 0x2a00, v58
	v_add_co_ci_u32_e32 v57, vcc_lo, 0, v59, vcc_lo
	v_add_co_u32 v60, vcc_lo, 0x2800, v58
	v_add_co_ci_u32_e32 v61, vcc_lo, 0, v59, vcc_lo
	;; [unrolled: 2-line block ×4, first 2 shown]
	s_clause 0x3
	global_load_dwordx4 v[56:59], v[56:57], off offset:16
	global_load_dwordx4 v[60:63], v[60:61], off offset:512
	;; [unrolled: 1-line block ×4, first 2 shown]
	v_mul_hi_u32 v28, 0xc22e4507, v103
	ds_read2_b64 v[72:75], v108 offset0:56 offset1:191
	ds_read2_b64 v[76:79], v107 offset0:70 offset1:205
	ds_read_b64 v[100:101], v102 offset:15120
	ds_read2_b64 v[80:83], v89 offset0:28 offset1:163
	ds_read2_b64 v[84:87], v106 offset0:84 offset1:219
	ds_read2_b64 v[92:95], v105 offset0:14 offset1:149
	ds_read2_b64 v[96:99], v104 offset0:42 offset1:177
	v_mul_hi_u32 v106, 0xc22e4507, v109
	v_mov_b32_e32 v89, v29
	v_mul_hi_u32 v107, 0xc22e4507, v110
	v_add_co_u32 v127, vcc_lo, s2, v90
	v_add_co_ci_u32_e32 v128, vcc_lo, s3, v91, vcc_lo
	v_lshrrev_b32_e32 v28, 9, v28
	v_lshlrev_b64 v[104:105], 4, v[88:89]
	v_lshrrev_b32_e32 v108, 9, v106
	v_lshrrev_b32_e32 v119, 9, v107
	ds_read2_b64 v[88:91], v102 offset1:135
	v_mad_u32_u24 v28, 0x546, v28, v103
	v_add_co_u32 v104, vcc_lo, v127, v104
	v_add_co_ci_u32_e32 v105, vcc_lo, v128, v105, vcc_lo
	v_lshlrev_b64 v[115:116], 4, v[28:29]
	v_mad_u32_u24 v28, 0x546, v108, v109
	v_add_co_u32 v106, vcc_lo, 0x2800, v104
	v_add_co_ci_u32_e32 v107, vcc_lo, 0, v105, vcc_lo
	v_lshlrev_b64 v[117:118], 4, v[28:29]
	v_mad_u32_u24 v28, 0x546, v119, v110
	v_add_co_u32 v111, vcc_lo, 0x5000, v104
	v_add_co_ci_u32_e32 v112, vcc_lo, 0, v105, vcc_lo
	v_add_co_u32 v113, vcc_lo, 0x800, v104
	v_add_co_ci_u32_e32 v114, vcc_lo, 0, v105, vcc_lo
	;; [unrolled: 2-line block ×4, first 2 shown]
	v_add_co_u32 v115, vcc_lo, v127, v115
	v_lshlrev_b64 v[28:29], 4, v[28:29]
	v_add_co_ci_u32_e32 v116, vcc_lo, v128, v116, vcc_lo
	v_add_co_u32 v117, vcc_lo, v127, v117
	v_add_co_ci_u32_e32 v118, vcc_lo, v128, v118, vcc_lo
	v_add_co_u32 v127, vcc_lo, v127, v28
	v_add_co_ci_u32_e32 v128, vcc_lo, v128, v29, vcc_lo
	s_waitcnt vmcnt(8) lgkmcnt(4)
	v_mul_f64 v[121:122], v[82:83], v[38:39]
	v_mul_f64 v[119:120], v[76:77], v[34:35]
	;; [unrolled: 1-line block ×3, first 2 shown]
	s_waitcnt vmcnt(6)
	v_mul_f64 v[123:124], v[100:101], v[46:47]
	v_mul_f64 v[46:47], v[30:31], v[46:47]
	v_mul_f64 v[125:126], v[74:75], v[42:43]
	v_mul_f64 v[42:43], v[26:27], v[42:43]
	v_mul_f64 v[38:39], v[10:11], v[38:39]
	s_waitcnt vmcnt(5)
	v_mul_f64 v[28:29], v[72:73], v[50:51]
	v_mul_f64 v[50:51], v[24:25], v[50:51]
	s_waitcnt vmcnt(4) lgkmcnt(3)
	v_mul_f64 v[129:130], v[86:87], v[54:55]
	v_fma_f64 v[10:11], v[10:11], v[36:37], -v[121:122]
	v_fma_f64 v[16:17], v[16:17], v[32:33], -v[119:120]
	v_fma_f64 v[32:33], v[32:33], v[76:77], v[34:35]
	v_mul_f64 v[34:35], v[22:23], v[54:55]
	v_fma_f64 v[30:31], v[30:31], v[44:45], -v[123:124]
	v_fma_f64 v[44:45], v[44:45], v[100:101], v[46:47]
	s_waitcnt vmcnt(1)
	v_mul_f64 v[46:47], v[78:79], v[66:67]
	v_mul_f64 v[66:67], v[18:19], v[66:67]
	s_waitcnt vmcnt(0)
	v_mul_f64 v[76:77], v[12:13], v[70:71]
	v_fma_f64 v[26:27], v[26:27], v[40:41], -v[125:126]
	v_fma_f64 v[40:41], v[40:41], v[74:75], v[42:43]
	s_waitcnt lgkmcnt(1)
	v_mul_f64 v[42:43], v[96:97], v[70:71]
	v_fma_f64 v[36:37], v[36:37], v[82:83], v[38:39]
	v_mul_f64 v[38:39], v[20:21], v[58:59]
	v_mul_f64 v[54:55], v[14:15], v[62:63]
	;; [unrolled: 1-line block ×4, first 2 shown]
	v_fma_f64 v[24:25], v[24:25], v[48:49], -v[28:29]
	v_fma_f64 v[28:29], v[48:49], v[72:73], v[50:51]
	v_fma_f64 v[22:23], v[22:23], v[52:53], -v[129:130]
	v_add_co_u32 v70, vcc_lo, 0x2800, v115
	v_add_co_ci_u32_e32 v71, vcc_lo, 0, v116, vcc_lo
	v_add_co_u32 v74, vcc_lo, 0x5000, v115
	v_fma_f64 v[34:35], v[52:53], v[86:87], v[34:35]
	v_add_co_ci_u32_e32 v75, vcc_lo, 0, v116, vcc_lo
	v_fma_f64 v[50:51], v[64:65], v[78:79], v[66:67]
	v_fma_f64 v[52:53], v[68:69], v[96:97], v[76:77]
	v_fma_f64 v[46:47], v[18:19], v[64:65], -v[46:47]
	v_add_f64 v[64:65], v[26:27], v[30:31]
	v_fma_f64 v[18:19], v[12:13], v[68:69], -v[42:43]
	s_waitcnt lgkmcnt(0)
	v_add_f64 v[12:13], v[36:37], v[88:89]
	v_fma_f64 v[38:39], v[56:57], v[84:85], v[38:39]
	v_fma_f64 v[48:49], v[60:61], v[98:99], v[54:55]
	v_fma_f64 v[14:15], v[14:15], v[60:61], -v[62:63]
	v_fma_f64 v[42:43], v[20:21], v[56:57], -v[58:59]
	v_add_f64 v[20:21], v[4:5], v[10:11]
	v_add_f64 v[54:55], v[36:37], v[32:33]
	;; [unrolled: 1-line block ×5, first 2 shown]
	v_add_f64 v[76:77], v[40:41], -v[44:45]
	v_add_f64 v[68:69], v[8:9], v[26:27]
	v_add_f64 v[72:73], v[26:27], -v[30:31]
	v_add_f64 v[96:97], v[24:25], v[22:23]
	v_add_f64 v[26:27], v[28:29], v[34:35]
	v_add_f64 v[58:59], v[10:11], -v[16:17]
	v_add_f64 v[36:37], v[36:37], -v[32:33]
	v_add_f64 v[98:99], v[2:3], v[24:25]
	v_add_f64 v[78:79], v[52:53], v[50:51]
	v_add_f64 v[119:120], v[24:25], -v[22:23]
	v_add_f64 v[84:85], v[28:29], v[94:95]
	v_add_f64 v[86:87], v[18:19], v[46:47]
	;; [unrolled: 3-line block ×3, first 2 shown]
	v_add_f64 v[28:29], v[48:49], v[92:93]
	v_add_f64 v[100:101], v[14:15], v[42:43]
	;; [unrolled: 1-line block ×3, first 2 shown]
	v_fma_f64 v[20:21], v[54:55], -0.5, v[88:89]
	v_fma_f64 v[24:25], v[56:57], -0.5, v[4:5]
	v_add_f64 v[88:89], v[48:49], -v[38:39]
	v_add_f64 v[48:49], v[52:53], v[90:91]
	v_add_f64 v[56:57], v[6:7], v[18:19]
	v_fma_f64 v[60:61], v[60:61], -0.5, v[80:81]
	v_add_f64 v[80:81], v[18:19], -v[46:47]
	v_add_f64 v[32:33], v[0:1], v[14:15]
	v_add_f64 v[54:55], v[14:15], -v[42:43]
	v_fma_f64 v[8:9], v[64:65], -0.5, v[8:9]
	v_fma_f64 v[94:95], v[26:27], -0.5, v[94:95]
	v_add_f64 v[4:5], v[68:69], v[30:31]
	v_fma_f64 v[78:79], v[78:79], -0.5, v[90:91]
	v_add_f64 v[90:91], v[52:53], -v[50:51]
	v_fma_f64 v[30:31], v[96:97], -0.5, v[2:3]
	v_fma_f64 v[86:87], v[86:87], -0.5, v[6:7]
	v_add_f64 v[14:15], v[98:99], v[22:23]
	v_add_f64 v[6:7], v[44:45], v[66:67]
	v_fma_f64 v[92:93], v[40:41], -0.5, v[92:93]
	v_add_f64 v[16:17], v[34:35], v[84:85]
	v_fma_f64 v[64:65], v[100:101], -0.5, v[0:1]
	v_add_co_u32 v82, vcc_lo, 0x2800, v117
	v_fma_f64 v[2:3], v[58:59], s[4:5], v[20:21]
	v_fma_f64 v[20:21], v[58:59], s[6:7], v[20:21]
	v_fma_f64 v[18:19], v[36:37], s[4:5], v[24:25]
	v_fma_f64 v[0:1], v[36:37], s[6:7], v[24:25]
	v_add_f64 v[24:25], v[38:39], v[28:29]
	v_add_f64 v[28:29], v[50:51], v[48:49]
	;; [unrolled: 1-line block ×4, first 2 shown]
	v_fma_f64 v[32:33], v[72:73], s[4:5], v[60:61]
	v_fma_f64 v[36:37], v[72:73], s[6:7], v[60:61]
	;; [unrolled: 1-line block ×14, first 2 shown]
	v_add_co_ci_u32_e32 v83, vcc_lo, 0, v118, vcc_lo
	v_fma_f64 v[34:35], v[76:77], s[4:5], v[8:9]
	v_add_co_u32 v62, vcc_lo, 0x5000, v117
	v_fma_f64 v[30:31], v[76:77], s[6:7], v[8:9]
	v_add_co_ci_u32_e32 v63, vcc_lo, 0, v118, vcc_lo
	v_add_co_u32 v8, vcc_lo, 0x2800, v127
	v_add_co_ci_u32_e32 v9, vcc_lo, 0, v128, vcc_lo
	v_add_co_u32 v64, vcc_lo, 0x5000, v127
	v_add_co_ci_u32_e32 v65, vcc_lo, 0, v128, vcc_lo
	global_store_dwordx4 v[104:105], v[10:13], off
	global_store_dwordx4 v[106:107], v[18:21], off offset:560
	global_store_dwordx4 v[111:112], v[0:3], off offset:1120
	;; [unrolled: 1-line block ×5, first 2 shown]
	global_store_dwordx4 v[115:116], v[22:25], off
	global_store_dwordx4 v[70:71], v[54:57], off offset:560
	global_store_dwordx4 v[74:75], v[42:45], off offset:1120
	global_store_dwordx4 v[117:118], v[14:17], off
	global_store_dwordx4 v[82:83], v[58:61], off offset:560
	global_store_dwordx4 v[62:63], v[38:41], off offset:1120
	;; [unrolled: 3-line block ×3, first 2 shown]
.LBB0_13:
	s_endpgm
	.section	.rodata,"a",@progbits
	.p2align	6, 0x0
	.amdhsa_kernel fft_rtc_fwd_len2025_factors_3_3_5_5_3_3_wgs_135_tpt_135_halfLds_dp_ip_CI_unitstride_sbrr_dirReg
		.amdhsa_group_segment_fixed_size 0
		.amdhsa_private_segment_fixed_size 0
		.amdhsa_kernarg_size 88
		.amdhsa_user_sgpr_count 6
		.amdhsa_user_sgpr_private_segment_buffer 1
		.amdhsa_user_sgpr_dispatch_ptr 0
		.amdhsa_user_sgpr_queue_ptr 0
		.amdhsa_user_sgpr_kernarg_segment_ptr 1
		.amdhsa_user_sgpr_dispatch_id 0
		.amdhsa_user_sgpr_flat_scratch_init 0
		.amdhsa_user_sgpr_private_segment_size 0
		.amdhsa_wavefront_size32 1
		.amdhsa_uses_dynamic_stack 0
		.amdhsa_system_sgpr_private_segment_wavefront_offset 0
		.amdhsa_system_sgpr_workgroup_id_x 1
		.amdhsa_system_sgpr_workgroup_id_y 0
		.amdhsa_system_sgpr_workgroup_id_z 0
		.amdhsa_system_sgpr_workgroup_info 0
		.amdhsa_system_vgpr_workitem_id 0
		.amdhsa_next_free_vgpr 154
		.amdhsa_next_free_sgpr 21
		.amdhsa_reserve_vcc 1
		.amdhsa_reserve_flat_scratch 0
		.amdhsa_float_round_mode_32 0
		.amdhsa_float_round_mode_16_64 0
		.amdhsa_float_denorm_mode_32 3
		.amdhsa_float_denorm_mode_16_64 3
		.amdhsa_dx10_clamp 1
		.amdhsa_ieee_mode 1
		.amdhsa_fp16_overflow 0
		.amdhsa_workgroup_processor_mode 1
		.amdhsa_memory_ordered 1
		.amdhsa_forward_progress 0
		.amdhsa_shared_vgpr_count 0
		.amdhsa_exception_fp_ieee_invalid_op 0
		.amdhsa_exception_fp_denorm_src 0
		.amdhsa_exception_fp_ieee_div_zero 0
		.amdhsa_exception_fp_ieee_overflow 0
		.amdhsa_exception_fp_ieee_underflow 0
		.amdhsa_exception_fp_ieee_inexact 0
		.amdhsa_exception_int_div_zero 0
	.end_amdhsa_kernel
	.text
.Lfunc_end0:
	.size	fft_rtc_fwd_len2025_factors_3_3_5_5_3_3_wgs_135_tpt_135_halfLds_dp_ip_CI_unitstride_sbrr_dirReg, .Lfunc_end0-fft_rtc_fwd_len2025_factors_3_3_5_5_3_3_wgs_135_tpt_135_halfLds_dp_ip_CI_unitstride_sbrr_dirReg
                                        ; -- End function
	.section	.AMDGPU.csdata,"",@progbits
; Kernel info:
; codeLenInByte = 12960
; NumSgprs: 23
; NumVgprs: 154
; ScratchSize: 0
; MemoryBound: 1
; FloatMode: 240
; IeeeMode: 1
; LDSByteSize: 0 bytes/workgroup (compile time only)
; SGPRBlocks: 2
; VGPRBlocks: 19
; NumSGPRsForWavesPerEU: 23
; NumVGPRsForWavesPerEU: 154
; Occupancy: 6
; WaveLimiterHint : 1
; COMPUTE_PGM_RSRC2:SCRATCH_EN: 0
; COMPUTE_PGM_RSRC2:USER_SGPR: 6
; COMPUTE_PGM_RSRC2:TRAP_HANDLER: 0
; COMPUTE_PGM_RSRC2:TGID_X_EN: 1
; COMPUTE_PGM_RSRC2:TGID_Y_EN: 0
; COMPUTE_PGM_RSRC2:TGID_Z_EN: 0
; COMPUTE_PGM_RSRC2:TIDIG_COMP_CNT: 0
	.text
	.p2alignl 6, 3214868480
	.fill 48, 4, 3214868480
	.type	__hip_cuid_724a3c841dd5bbaf,@object ; @__hip_cuid_724a3c841dd5bbaf
	.section	.bss,"aw",@nobits
	.globl	__hip_cuid_724a3c841dd5bbaf
__hip_cuid_724a3c841dd5bbaf:
	.byte	0                               ; 0x0
	.size	__hip_cuid_724a3c841dd5bbaf, 1

	.ident	"AMD clang version 19.0.0git (https://github.com/RadeonOpenCompute/llvm-project roc-6.4.0 25133 c7fe45cf4b819c5991fe208aaa96edf142730f1d)"
	.section	".note.GNU-stack","",@progbits
	.addrsig
	.addrsig_sym __hip_cuid_724a3c841dd5bbaf
	.amdgpu_metadata
---
amdhsa.kernels:
  - .args:
      - .actual_access:  read_only
        .address_space:  global
        .offset:         0
        .size:           8
        .value_kind:     global_buffer
      - .offset:         8
        .size:           8
        .value_kind:     by_value
      - .actual_access:  read_only
        .address_space:  global
        .offset:         16
        .size:           8
        .value_kind:     global_buffer
      - .actual_access:  read_only
        .address_space:  global
        .offset:         24
        .size:           8
        .value_kind:     global_buffer
      - .offset:         32
        .size:           8
        .value_kind:     by_value
      - .actual_access:  read_only
        .address_space:  global
        .offset:         40
        .size:           8
        .value_kind:     global_buffer
      - .actual_access:  read_only
        .address_space:  global
        .offset:         48
        .size:           8
        .value_kind:     global_buffer
      - .offset:         56
        .size:           4
        .value_kind:     by_value
      - .actual_access:  read_only
        .address_space:  global
        .offset:         64
        .size:           8
        .value_kind:     global_buffer
      - .actual_access:  read_only
        .address_space:  global
        .offset:         72
        .size:           8
        .value_kind:     global_buffer
      - .address_space:  global
        .offset:         80
        .size:           8
        .value_kind:     global_buffer
    .group_segment_fixed_size: 0
    .kernarg_segment_align: 8
    .kernarg_segment_size: 88
    .language:       OpenCL C
    .language_version:
      - 2
      - 0
    .max_flat_workgroup_size: 135
    .name:           fft_rtc_fwd_len2025_factors_3_3_5_5_3_3_wgs_135_tpt_135_halfLds_dp_ip_CI_unitstride_sbrr_dirReg
    .private_segment_fixed_size: 0
    .sgpr_count:     23
    .sgpr_spill_count: 0
    .symbol:         fft_rtc_fwd_len2025_factors_3_3_5_5_3_3_wgs_135_tpt_135_halfLds_dp_ip_CI_unitstride_sbrr_dirReg.kd
    .uniform_work_group_size: 1
    .uses_dynamic_stack: false
    .vgpr_count:     154
    .vgpr_spill_count: 0
    .wavefront_size: 32
    .workgroup_processor_mode: 1
amdhsa.target:   amdgcn-amd-amdhsa--gfx1030
amdhsa.version:
  - 1
  - 2
...

	.end_amdgpu_metadata
